;; amdgpu-corpus repo=ROCm/rocSOLVER kind=compiled arch=gfx906 opt=O3
	.amdgcn_target "amdgcn-amd-amdhsa--gfx906"
	.amdhsa_code_object_version 6
	.section	.text._ZN9rocsolver6v33100L10reset_infoIiiiEEvPT_T0_T1_S4_,"axG",@progbits,_ZN9rocsolver6v33100L10reset_infoIiiiEEvPT_T0_T1_S4_,comdat
	.globl	_ZN9rocsolver6v33100L10reset_infoIiiiEEvPT_T0_T1_S4_ ; -- Begin function _ZN9rocsolver6v33100L10reset_infoIiiiEEvPT_T0_T1_S4_
	.p2align	8
	.type	_ZN9rocsolver6v33100L10reset_infoIiiiEEvPT_T0_T1_S4_,@function
_ZN9rocsolver6v33100L10reset_infoIiiiEEvPT_T0_T1_S4_: ; @_ZN9rocsolver6v33100L10reset_infoIiiiEEvPT_T0_T1_S4_
; %bb.0:
	s_load_dword s7, s[4:5], 0x24
	s_load_dwordx4 s[0:3], s[4:5], 0x8
	s_waitcnt lgkmcnt(0)
	s_and_b32 s3, s7, 0xffff
	s_mul_i32 s6, s6, s3
	v_add_u32_e32 v0, s6, v0
	v_cmp_gt_i32_e32 vcc, s0, v0
	s_and_saveexec_b64 s[6:7], vcc
	s_cbranch_execz .LBB0_2
; %bb.1:
	s_load_dwordx2 s[4:5], s[4:5], 0x0
	v_ashrrev_i32_e32 v1, 31, v0
	v_mul_lo_u32 v2, v0, s2
	v_lshlrev_b64 v[0:1], 2, v[0:1]
	s_waitcnt lgkmcnt(0)
	v_mov_b32_e32 v3, s5
	v_add_co_u32_e32 v0, vcc, s4, v0
	v_addc_co_u32_e32 v1, vcc, v3, v1, vcc
	v_add_u32_e32 v2, s1, v2
	global_store_dword v[0:1], v2, off
.LBB0_2:
	s_endpgm
	.section	.rodata,"a",@progbits
	.p2align	6, 0x0
	.amdhsa_kernel _ZN9rocsolver6v33100L10reset_infoIiiiEEvPT_T0_T1_S4_
		.amdhsa_group_segment_fixed_size 0
		.amdhsa_private_segment_fixed_size 0
		.amdhsa_kernarg_size 280
		.amdhsa_user_sgpr_count 6
		.amdhsa_user_sgpr_private_segment_buffer 1
		.amdhsa_user_sgpr_dispatch_ptr 0
		.amdhsa_user_sgpr_queue_ptr 0
		.amdhsa_user_sgpr_kernarg_segment_ptr 1
		.amdhsa_user_sgpr_dispatch_id 0
		.amdhsa_user_sgpr_flat_scratch_init 0
		.amdhsa_user_sgpr_private_segment_size 0
		.amdhsa_uses_dynamic_stack 0
		.amdhsa_system_sgpr_private_segment_wavefront_offset 0
		.amdhsa_system_sgpr_workgroup_id_x 1
		.amdhsa_system_sgpr_workgroup_id_y 0
		.amdhsa_system_sgpr_workgroup_id_z 0
		.amdhsa_system_sgpr_workgroup_info 0
		.amdhsa_system_vgpr_workitem_id 0
		.amdhsa_next_free_vgpr 4
		.amdhsa_next_free_sgpr 8
		.amdhsa_reserve_vcc 1
		.amdhsa_reserve_flat_scratch 0
		.amdhsa_float_round_mode_32 0
		.amdhsa_float_round_mode_16_64 0
		.amdhsa_float_denorm_mode_32 3
		.amdhsa_float_denorm_mode_16_64 3
		.amdhsa_dx10_clamp 1
		.amdhsa_ieee_mode 1
		.amdhsa_fp16_overflow 0
		.amdhsa_exception_fp_ieee_invalid_op 0
		.amdhsa_exception_fp_denorm_src 0
		.amdhsa_exception_fp_ieee_div_zero 0
		.amdhsa_exception_fp_ieee_overflow 0
		.amdhsa_exception_fp_ieee_underflow 0
		.amdhsa_exception_fp_ieee_inexact 0
		.amdhsa_exception_int_div_zero 0
	.end_amdhsa_kernel
	.section	.text._ZN9rocsolver6v33100L10reset_infoIiiiEEvPT_T0_T1_S4_,"axG",@progbits,_ZN9rocsolver6v33100L10reset_infoIiiiEEvPT_T0_T1_S4_,comdat
.Lfunc_end0:
	.size	_ZN9rocsolver6v33100L10reset_infoIiiiEEvPT_T0_T1_S4_, .Lfunc_end0-_ZN9rocsolver6v33100L10reset_infoIiiiEEvPT_T0_T1_S4_
                                        ; -- End function
	.set _ZN9rocsolver6v33100L10reset_infoIiiiEEvPT_T0_T1_S4_.num_vgpr, 4
	.set _ZN9rocsolver6v33100L10reset_infoIiiiEEvPT_T0_T1_S4_.num_agpr, 0
	.set _ZN9rocsolver6v33100L10reset_infoIiiiEEvPT_T0_T1_S4_.numbered_sgpr, 8
	.set _ZN9rocsolver6v33100L10reset_infoIiiiEEvPT_T0_T1_S4_.num_named_barrier, 0
	.set _ZN9rocsolver6v33100L10reset_infoIiiiEEvPT_T0_T1_S4_.private_seg_size, 0
	.set _ZN9rocsolver6v33100L10reset_infoIiiiEEvPT_T0_T1_S4_.uses_vcc, 1
	.set _ZN9rocsolver6v33100L10reset_infoIiiiEEvPT_T0_T1_S4_.uses_flat_scratch, 0
	.set _ZN9rocsolver6v33100L10reset_infoIiiiEEvPT_T0_T1_S4_.has_dyn_sized_stack, 0
	.set _ZN9rocsolver6v33100L10reset_infoIiiiEEvPT_T0_T1_S4_.has_recursion, 0
	.set _ZN9rocsolver6v33100L10reset_infoIiiiEEvPT_T0_T1_S4_.has_indirect_call, 0
	.section	.AMDGPU.csdata,"",@progbits
; Kernel info:
; codeLenInByte = 108
; TotalNumSgprs: 12
; NumVgprs: 4
; ScratchSize: 0
; MemoryBound: 0
; FloatMode: 240
; IeeeMode: 1
; LDSByteSize: 0 bytes/workgroup (compile time only)
; SGPRBlocks: 1
; VGPRBlocks: 0
; NumSGPRsForWavesPerEU: 12
; NumVGPRsForWavesPerEU: 4
; Occupancy: 10
; WaveLimiterHint : 0
; COMPUTE_PGM_RSRC2:SCRATCH_EN: 0
; COMPUTE_PGM_RSRC2:USER_SGPR: 6
; COMPUTE_PGM_RSRC2:TRAP_HANDLER: 0
; COMPUTE_PGM_RSRC2:TGID_X_EN: 1
; COMPUTE_PGM_RSRC2:TGID_Y_EN: 0
; COMPUTE_PGM_RSRC2:TGID_Z_EN: 0
; COMPUTE_PGM_RSRC2:TIDIG_COMP_CNT: 0
	.section	.text._ZN9rocsolver6v33100L16reset_batch_infoIfiiPfEEvT2_lT0_T1_,"axG",@progbits,_ZN9rocsolver6v33100L16reset_batch_infoIfiiPfEEvT2_lT0_T1_,comdat
	.globl	_ZN9rocsolver6v33100L16reset_batch_infoIfiiPfEEvT2_lT0_T1_ ; -- Begin function _ZN9rocsolver6v33100L16reset_batch_infoIfiiPfEEvT2_lT0_T1_
	.p2align	8
	.type	_ZN9rocsolver6v33100L16reset_batch_infoIfiiPfEEvT2_lT0_T1_,@function
_ZN9rocsolver6v33100L16reset_batch_infoIfiiPfEEvT2_lT0_T1_: ; @_ZN9rocsolver6v33100L16reset_batch_infoIfiiPfEEvT2_lT0_T1_
; %bb.0:
	s_load_dword s2, s[4:5], 0x24
	s_load_dwordx2 s[0:1], s[4:5], 0x10
	s_waitcnt lgkmcnt(0)
	s_and_b32 s2, s2, 0xffff
	s_mul_i32 s6, s6, s2
	v_add_u32_e32 v0, s6, v0
	v_cmp_gt_i32_e32 vcc, s0, v0
	s_and_saveexec_b64 s[2:3], vcc
	s_cbranch_execz .LBB1_2
; %bb.1:
	s_load_dwordx4 s[8:11], s[4:5], 0x0
	s_ashr_i32 s0, s7, 31
	v_ashrrev_i32_e32 v1, 31, v0
	v_lshlrev_b64 v[0:1], 2, v[0:1]
	v_cvt_f32_i32_e32 v3, s1
	s_waitcnt lgkmcnt(0)
	s_mul_hi_u32 s3, s10, s7
	s_mul_i32 s0, s10, s0
	s_mul_i32 s4, s11, s7
	s_add_i32 s0, s3, s0
	s_mul_i32 s2, s10, s7
	s_add_i32 s3, s0, s4
	s_lshl_b64 s[2:3], s[2:3], 2
	s_add_u32 s0, s8, s2
	s_addc_u32 s2, s9, s3
	v_mov_b32_e32 v2, s2
	v_add_co_u32_e32 v0, vcc, s0, v0
	v_addc_co_u32_e32 v1, vcc, v2, v1, vcc
	global_store_dword v[0:1], v3, off
.LBB1_2:
	s_endpgm
	.section	.rodata,"a",@progbits
	.p2align	6, 0x0
	.amdhsa_kernel _ZN9rocsolver6v33100L16reset_batch_infoIfiiPfEEvT2_lT0_T1_
		.amdhsa_group_segment_fixed_size 0
		.amdhsa_private_segment_fixed_size 0
		.amdhsa_kernarg_size 280
		.amdhsa_user_sgpr_count 6
		.amdhsa_user_sgpr_private_segment_buffer 1
		.amdhsa_user_sgpr_dispatch_ptr 0
		.amdhsa_user_sgpr_queue_ptr 0
		.amdhsa_user_sgpr_kernarg_segment_ptr 1
		.amdhsa_user_sgpr_dispatch_id 0
		.amdhsa_user_sgpr_flat_scratch_init 0
		.amdhsa_user_sgpr_private_segment_size 0
		.amdhsa_uses_dynamic_stack 0
		.amdhsa_system_sgpr_private_segment_wavefront_offset 0
		.amdhsa_system_sgpr_workgroup_id_x 1
		.amdhsa_system_sgpr_workgroup_id_y 1
		.amdhsa_system_sgpr_workgroup_id_z 0
		.amdhsa_system_sgpr_workgroup_info 0
		.amdhsa_system_vgpr_workitem_id 0
		.amdhsa_next_free_vgpr 4
		.amdhsa_next_free_sgpr 12
		.amdhsa_reserve_vcc 1
		.amdhsa_reserve_flat_scratch 0
		.amdhsa_float_round_mode_32 0
		.amdhsa_float_round_mode_16_64 0
		.amdhsa_float_denorm_mode_32 3
		.amdhsa_float_denorm_mode_16_64 3
		.amdhsa_dx10_clamp 1
		.amdhsa_ieee_mode 1
		.amdhsa_fp16_overflow 0
		.amdhsa_exception_fp_ieee_invalid_op 0
		.amdhsa_exception_fp_denorm_src 0
		.amdhsa_exception_fp_ieee_div_zero 0
		.amdhsa_exception_fp_ieee_overflow 0
		.amdhsa_exception_fp_ieee_underflow 0
		.amdhsa_exception_fp_ieee_inexact 0
		.amdhsa_exception_int_div_zero 0
	.end_amdhsa_kernel
	.section	.text._ZN9rocsolver6v33100L16reset_batch_infoIfiiPfEEvT2_lT0_T1_,"axG",@progbits,_ZN9rocsolver6v33100L16reset_batch_infoIfiiPfEEvT2_lT0_T1_,comdat
.Lfunc_end1:
	.size	_ZN9rocsolver6v33100L16reset_batch_infoIfiiPfEEvT2_lT0_T1_, .Lfunc_end1-_ZN9rocsolver6v33100L16reset_batch_infoIfiiPfEEvT2_lT0_T1_
                                        ; -- End function
	.set _ZN9rocsolver6v33100L16reset_batch_infoIfiiPfEEvT2_lT0_T1_.num_vgpr, 4
	.set _ZN9rocsolver6v33100L16reset_batch_infoIfiiPfEEvT2_lT0_T1_.num_agpr, 0
	.set _ZN9rocsolver6v33100L16reset_batch_infoIfiiPfEEvT2_lT0_T1_.numbered_sgpr, 12
	.set _ZN9rocsolver6v33100L16reset_batch_infoIfiiPfEEvT2_lT0_T1_.num_named_barrier, 0
	.set _ZN9rocsolver6v33100L16reset_batch_infoIfiiPfEEvT2_lT0_T1_.private_seg_size, 0
	.set _ZN9rocsolver6v33100L16reset_batch_infoIfiiPfEEvT2_lT0_T1_.uses_vcc, 1
	.set _ZN9rocsolver6v33100L16reset_batch_infoIfiiPfEEvT2_lT0_T1_.uses_flat_scratch, 0
	.set _ZN9rocsolver6v33100L16reset_batch_infoIfiiPfEEvT2_lT0_T1_.has_dyn_sized_stack, 0
	.set _ZN9rocsolver6v33100L16reset_batch_infoIfiiPfEEvT2_lT0_T1_.has_recursion, 0
	.set _ZN9rocsolver6v33100L16reset_batch_infoIfiiPfEEvT2_lT0_T1_.has_indirect_call, 0
	.section	.AMDGPU.csdata,"",@progbits
; Kernel info:
; codeLenInByte = 140
; TotalNumSgprs: 16
; NumVgprs: 4
; ScratchSize: 0
; MemoryBound: 0
; FloatMode: 240
; IeeeMode: 1
; LDSByteSize: 0 bytes/workgroup (compile time only)
; SGPRBlocks: 1
; VGPRBlocks: 0
; NumSGPRsForWavesPerEU: 16
; NumVGPRsForWavesPerEU: 4
; Occupancy: 10
; WaveLimiterHint : 0
; COMPUTE_PGM_RSRC2:SCRATCH_EN: 0
; COMPUTE_PGM_RSRC2:USER_SGPR: 6
; COMPUTE_PGM_RSRC2:TRAP_HANDLER: 0
; COMPUTE_PGM_RSRC2:TGID_X_EN: 1
; COMPUTE_PGM_RSRC2:TGID_Y_EN: 1
; COMPUTE_PGM_RSRC2:TGID_Z_EN: 0
; COMPUTE_PGM_RSRC2:TIDIG_COMP_CNT: 0
	.section	.text._ZN9rocsolver6v33100L10init_identIfPfEEviiT0_iil,"axG",@progbits,_ZN9rocsolver6v33100L10init_identIfPfEEviiT0_iil,comdat
	.globl	_ZN9rocsolver6v33100L10init_identIfPfEEviiT0_iil ; -- Begin function _ZN9rocsolver6v33100L10init_identIfPfEEviiT0_iil
	.p2align	8
	.type	_ZN9rocsolver6v33100L10init_identIfPfEEviiT0_iil,@function
_ZN9rocsolver6v33100L10init_identIfPfEEviiT0_iil: ; @_ZN9rocsolver6v33100L10init_identIfPfEEviiT0_iil
; %bb.0:
	s_load_dword s2, s[4:5], 0x2c
	s_load_dwordx2 s[0:1], s[4:5], 0x0
	s_waitcnt lgkmcnt(0)
	s_lshr_b32 s3, s2, 16
	s_and_b32 s2, s2, 0xffff
	s_mul_i32 s6, s6, s2
	s_mul_i32 s7, s7, s3
	v_add_u32_e32 v2, s6, v0
	v_add_u32_e32 v1, s7, v1
	v_cmp_gt_u32_e32 vcc, s0, v2
	v_cmp_gt_u32_e64 s[0:1], s1, v1
	s_and_b64 s[0:1], vcc, s[0:1]
	s_and_saveexec_b64 s[2:3], s[0:1]
	s_cbranch_execz .LBB2_6
; %bb.1:
	s_load_dwordx2 s[0:1], s[4:5], 0x10
	v_cmp_ne_u32_e32 vcc, v2, v1
                                        ; implicit-def: $vgpr0
	s_and_saveexec_b64 s[2:3], vcc
	s_xor_b64 s[2:3], exec, s[2:3]
	s_cbranch_execz .LBB2_3
; %bb.2:
	s_waitcnt lgkmcnt(0)
	v_mad_u64_u32 v[0:1], s[6:7], v1, s1, v[2:3]
                                        ; implicit-def: $vgpr2
.LBB2_3:
	s_or_saveexec_b64 s[2:3], s[2:3]
	v_mov_b32_e32 v1, 0
	v_mov_b32_e32 v3, 0
	s_xor_b64 exec, exec, s[2:3]
	s_cbranch_execz .LBB2_5
; %bb.4:
	s_waitcnt lgkmcnt(0)
	v_mad_u64_u32 v[2:3], s[6:7], v2, s1, v[2:3]
	v_mov_b32_e32 v3, 1.0
	v_mov_b32_e32 v0, v2
.LBB2_5:
	s_or_b64 exec, exec, s[2:3]
	s_load_dwordx2 s[2:3], s[4:5], 0x18
	s_load_dwordx2 s[6:7], s[4:5], 0x8
	s_waitcnt lgkmcnt(0)
	s_ashr_i32 s1, s0, 31
	v_lshlrev_b64 v[0:1], 2, v[0:1]
	s_mul_i32 s3, s3, s8
	s_mul_hi_u32 s4, s2, s8
	s_mul_i32 s2, s2, s8
	s_add_i32 s3, s4, s3
	s_lshl_b64 s[2:3], s[2:3], 2
	s_add_u32 s2, s6, s2
	s_addc_u32 s3, s7, s3
	s_lshl_b64 s[0:1], s[0:1], 2
	s_add_u32 s0, s2, s0
	s_addc_u32 s1, s3, s1
	v_mov_b32_e32 v2, s1
	v_add_co_u32_e32 v0, vcc, s0, v0
	v_addc_co_u32_e32 v1, vcc, v2, v1, vcc
	global_store_dword v[0:1], v3, off
.LBB2_6:
	s_endpgm
	.section	.rodata,"a",@progbits
	.p2align	6, 0x0
	.amdhsa_kernel _ZN9rocsolver6v33100L10init_identIfPfEEviiT0_iil
		.amdhsa_group_segment_fixed_size 0
		.amdhsa_private_segment_fixed_size 0
		.amdhsa_kernarg_size 288
		.amdhsa_user_sgpr_count 6
		.amdhsa_user_sgpr_private_segment_buffer 1
		.amdhsa_user_sgpr_dispatch_ptr 0
		.amdhsa_user_sgpr_queue_ptr 0
		.amdhsa_user_sgpr_kernarg_segment_ptr 1
		.amdhsa_user_sgpr_dispatch_id 0
		.amdhsa_user_sgpr_flat_scratch_init 0
		.amdhsa_user_sgpr_private_segment_size 0
		.amdhsa_uses_dynamic_stack 0
		.amdhsa_system_sgpr_private_segment_wavefront_offset 0
		.amdhsa_system_sgpr_workgroup_id_x 1
		.amdhsa_system_sgpr_workgroup_id_y 1
		.amdhsa_system_sgpr_workgroup_id_z 1
		.amdhsa_system_sgpr_workgroup_info 0
		.amdhsa_system_vgpr_workitem_id 1
		.amdhsa_next_free_vgpr 4
		.amdhsa_next_free_sgpr 9
		.amdhsa_reserve_vcc 1
		.amdhsa_reserve_flat_scratch 0
		.amdhsa_float_round_mode_32 0
		.amdhsa_float_round_mode_16_64 0
		.amdhsa_float_denorm_mode_32 3
		.amdhsa_float_denorm_mode_16_64 3
		.amdhsa_dx10_clamp 1
		.amdhsa_ieee_mode 1
		.amdhsa_fp16_overflow 0
		.amdhsa_exception_fp_ieee_invalid_op 0
		.amdhsa_exception_fp_denorm_src 0
		.amdhsa_exception_fp_ieee_div_zero 0
		.amdhsa_exception_fp_ieee_overflow 0
		.amdhsa_exception_fp_ieee_underflow 0
		.amdhsa_exception_fp_ieee_inexact 0
		.amdhsa_exception_int_div_zero 0
	.end_amdhsa_kernel
	.section	.text._ZN9rocsolver6v33100L10init_identIfPfEEviiT0_iil,"axG",@progbits,_ZN9rocsolver6v33100L10init_identIfPfEEviiT0_iil,comdat
.Lfunc_end2:
	.size	_ZN9rocsolver6v33100L10init_identIfPfEEviiT0_iil, .Lfunc_end2-_ZN9rocsolver6v33100L10init_identIfPfEEviiT0_iil
                                        ; -- End function
	.set _ZN9rocsolver6v33100L10init_identIfPfEEviiT0_iil.num_vgpr, 4
	.set _ZN9rocsolver6v33100L10init_identIfPfEEviiT0_iil.num_agpr, 0
	.set _ZN9rocsolver6v33100L10init_identIfPfEEviiT0_iil.numbered_sgpr, 9
	.set _ZN9rocsolver6v33100L10init_identIfPfEEviiT0_iil.num_named_barrier, 0
	.set _ZN9rocsolver6v33100L10init_identIfPfEEviiT0_iil.private_seg_size, 0
	.set _ZN9rocsolver6v33100L10init_identIfPfEEviiT0_iil.uses_vcc, 1
	.set _ZN9rocsolver6v33100L10init_identIfPfEEviiT0_iil.uses_flat_scratch, 0
	.set _ZN9rocsolver6v33100L10init_identIfPfEEviiT0_iil.has_dyn_sized_stack, 0
	.set _ZN9rocsolver6v33100L10init_identIfPfEEviiT0_iil.has_recursion, 0
	.set _ZN9rocsolver6v33100L10init_identIfPfEEviiT0_iil.has_indirect_call, 0
	.section	.AMDGPU.csdata,"",@progbits
; Kernel info:
; codeLenInByte = 248
; TotalNumSgprs: 13
; NumVgprs: 4
; ScratchSize: 0
; MemoryBound: 0
; FloatMode: 240
; IeeeMode: 1
; LDSByteSize: 0 bytes/workgroup (compile time only)
; SGPRBlocks: 1
; VGPRBlocks: 0
; NumSGPRsForWavesPerEU: 13
; NumVGPRsForWavesPerEU: 4
; Occupancy: 10
; WaveLimiterHint : 0
; COMPUTE_PGM_RSRC2:SCRATCH_EN: 0
; COMPUTE_PGM_RSRC2:USER_SGPR: 6
; COMPUTE_PGM_RSRC2:TRAP_HANDLER: 0
; COMPUTE_PGM_RSRC2:TGID_X_EN: 1
; COMPUTE_PGM_RSRC2:TGID_Y_EN: 1
; COMPUTE_PGM_RSRC2:TGID_Z_EN: 1
; COMPUTE_PGM_RSRC2:TIDIG_COMP_CNT: 1
	.section	.text._ZN9rocsolver6v33100L12stedcj_splitIfEEviPT_lS3_lPiS2_,"axG",@progbits,_ZN9rocsolver6v33100L12stedcj_splitIfEEviPT_lS3_lPiS2_,comdat
	.globl	_ZN9rocsolver6v33100L12stedcj_splitIfEEviPT_lS3_lPiS2_ ; -- Begin function _ZN9rocsolver6v33100L12stedcj_splitIfEEviPT_lS3_lPiS2_
	.p2align	8
	.type	_ZN9rocsolver6v33100L12stedcj_splitIfEEviPT_lS3_lPiS2_,@function
_ZN9rocsolver6v33100L12stedcj_splitIfEEviPT_lS3_lPiS2_: ; @_ZN9rocsolver6v33100L12stedcj_splitIfEEviPT_lS3_lPiS2_
; %bb.0:
	s_load_dword s2, s[4:5], 0x0
	s_load_dwordx2 s[0:1], s[4:5], 0x28
	v_mov_b32_e32 v0, 0
	s_mov_b32 s10, 1
	s_waitcnt lgkmcnt(0)
	s_mul_i32 s3, s2, 5
	s_add_i32 s3, s3, 2
	s_mul_i32 s8, s3, s6
	s_ashr_i32 s9, s8, 31
	s_lshl_b64 s[8:9], s[8:9], 2
	s_add_u32 s8, s0, s8
	s_addc_u32 s9, s1, s9
	s_cmp_lt_i32 s2, 1
	global_store_dword v0, v0, s[8:9]
	s_cbranch_scc1 .LBB3_13
; %bb.1:
	s_load_dwordx8 s[20:27], s[4:5], 0x8
	s_load_dword s3, s[4:5], 0x30
	s_ashr_i32 s4, s6, 31
	v_mov_b32_e32 v1, 0x260
	v_mov_b32_e32 v2, 0xf800000
	s_waitcnt lgkmcnt(0)
	s_mul_hi_u32 s0, s22, s6
	s_mul_i32 s1, s22, s4
	s_mul_i32 s5, s23, s6
	s_add_i32 s0, s0, s1
	s_add_i32 s1, s0, s5
	s_mul_i32 s0, s22, s6
	s_lshl_b64 s[0:1], s[0:1], 2
	s_add_u32 s16, s20, s0
	s_addc_u32 s17, s21, s1
	s_add_i32 s18, s2, -1
	s_add_u32 s19, s16, 4
	s_mul_hi_u32 s0, s26, s6
	s_mul_i32 s1, s26, s4
	s_addc_u32 s20, s17, 0
	s_add_i32 s0, s0, s1
	s_mul_i32 s1, s27, s6
	s_add_i32 s1, s0, s1
	s_mul_i32 s0, s26, s6
	s_lshl_b64 s[0:1], s[0:1], 2
	s_add_u32 s21, s24, s0
	s_mov_b32 s5, 0
	s_addc_u32 s22, s25, s1
	v_mov_b32_e32 v3, 0x4f800000
	s_mov_b32 s4, s5
	s_branch .LBB3_4
.LBB3_2:                                ;   in Loop: Header=BB3_4 Depth=1
	s_mov_b32 s23, 1
.LBB3_3:                                ;   in Loop: Header=BB3_4 Depth=1
	s_add_i32 s4, s23, s4
	s_cmp_lt_i32 s4, s2
	s_cbranch_scc0 .LBB3_13
.LBB3_4:                                ; =>This Loop Header: Depth=1
                                        ;     Child Loop BB3_6 Depth 2
	s_cmp_ge_i32 s4, s18
	s_cbranch_scc1 .LBB3_2
; %bb.5:                                ;   in Loop: Header=BB3_4 Depth=1
	s_lshl_b64 s[0:1], s[4:5], 2
	s_add_u32 s6, s16, s0
	s_addc_u32 s7, s17, s1
	s_load_dword s24, s[6:7], 0x0
	s_add_u32 s6, s19, s0
	s_addc_u32 s7, s20, s1
	s_add_u32 s12, s21, s0
	s_addc_u32 s13, s22, s1
	s_mov_b32 s11, 0
.LBB3_6:                                ;   Parent Loop BB3_4 Depth=1
                                        ; =>  This Inner Loop Header: Depth=2
	s_waitcnt lgkmcnt(0)
	v_mul_f32_e64 v4, |s24|, v3
	v_mov_b32_e32 v5, s24
	v_cmp_lt_f32_e64 vcc, |s24|, v2
	v_cndmask_b32_e64 v4, |v5|, v4, vcc
	v_sqrt_f32_e32 v5, v4
	s_load_dword s24, s[6:7], 0x0
	s_add_i32 s23, s11, 1
                                        ; implicit-def: $sgpr25
	v_add_u32_e32 v6, -1, v5
	v_fma_f32 v7, -v6, v5, v4
	v_cmp_ge_f32_e64 s[0:1], 0, v7
	v_add_u32_e32 v7, 1, v5
	v_cndmask_b32_e64 v6, v5, v6, s[0:1]
	v_fma_f32 v5, -v7, v5, v4
	v_cmp_lt_f32_e64 s[0:1], 0, v5
	v_cndmask_b32_e64 v5, v6, v7, s[0:1]
	v_mul_f32_e32 v6, 0x37800000, v5
	v_cndmask_b32_e32 v5, v5, v6, vcc
	s_waitcnt lgkmcnt(0)
	v_mul_f32_e64 v6, |s24|, v3
	v_mov_b32_e32 v7, s24
	v_cmp_lt_f32_e64 vcc, |s24|, v2
	v_cndmask_b32_e64 v6, |v7|, v6, vcc
	v_sqrt_f32_e32 v7, v6
	v_cmp_class_f32_e64 s[0:1], v4, v1
	v_cndmask_b32_e64 v4, v5, v4, s[0:1]
	v_mul_f32_e32 v4, s3, v4
	v_add_u32_e32 v5, -1, v7
	v_fma_f32 v8, -v5, v7, v6
	v_cmp_ge_f32_e64 s[0:1], 0, v8
	v_add_u32_e32 v8, 1, v7
	v_cndmask_b32_e64 v5, v7, v5, s[0:1]
	v_fma_f32 v7, -v8, v7, v6
	v_cmp_lt_f32_e64 s[0:1], 0, v7
	v_cndmask_b32_e64 v5, v5, v8, s[0:1]
	s_load_dword s0, s[12:13], 0x0
	v_mul_f32_e32 v7, 0x37800000, v5
	v_cndmask_b32_e32 v5, v5, v7, vcc
	v_cmp_class_f32_e32 vcc, v6, v1
	v_cndmask_b32_e32 v5, v5, v6, vcc
	v_mul_f32_e32 v4, v4, v5
	s_waitcnt lgkmcnt(0)
	v_cmp_nlt_f32_e64 s[14:15], |s0|, v4
	s_mov_b64 s[0:1], -1
	s_and_b64 vcc, exec, s[14:15]
	s_mov_b64 s[14:15], -1
	s_cbranch_vccz .LBB3_8
; %bb.7:                                ;   in Loop: Header=BB3_6 Depth=2
	s_add_i32 s0, s4, s23
	s_add_u32 s6, s6, 4
	s_addc_u32 s7, s7, 0
	s_add_u32 s12, s12, 4
	s_addc_u32 s13, s13, 0
	s_cmp_ge_i32 s0, s18
	s_cselect_b64 s[14:15], -1, 0
	s_add_i32 s25, s23, 1
	s_mov_b64 s[0:1], 0
.LBB3_8:                                ;   in Loop: Header=BB3_6 Depth=2
	s_andn2_b64 vcc, exec, s[14:15]
	s_cbranch_vccz .LBB3_10
; %bb.9:                                ;   in Loop: Header=BB3_6 Depth=2
	s_mov_b32 s11, s23
	s_branch .LBB3_6
.LBB3_10:                               ;   in Loop: Header=BB3_4 Depth=1
	s_and_b64 vcc, exec, s[0:1]
	s_cbranch_vccz .LBB3_12
; %bb.11:                               ;   in Loop: Header=BB3_4 Depth=1
	s_add_i32 s0, s4, s11
	s_ashr_i32 s11, s10, 31
	s_add_i32 s6, s0, 1
	s_lshl_b64 s[0:1], s[10:11], 2
	s_add_u32 s0, s8, s0
	s_addc_u32 s1, s9, s1
	v_mov_b32_e32 v4, s6
	s_add_i32 s10, s10, 1
	global_store_dword v0, v4, s[0:1]
	s_branch .LBB3_3
.LBB3_12:                               ;   in Loop: Header=BB3_4 Depth=1
	s_mov_b32 s23, s25
	s_branch .LBB3_3
.LBB3_13:
	s_ashr_i32 s11, s10, 31
	s_lshl_b64 s[0:1], s[10:11], 2
	s_add_u32 s0, s8, s0
	s_addc_u32 s1, s9, s1
	v_mov_b32_e32 v0, 0
	v_mov_b32_e32 v1, s2
	s_ashr_i32 s3, s2, 31
	global_store_dword v0, v1, s[0:1]
	s_lshl_b64 s[0:1], s[2:3], 2
	s_add_u32 s0, s8, s0
	s_addc_u32 s1, s9, s1
	v_mov_b32_e32 v1, s10
	global_store_dword v0, v1, s[0:1] offset:4
	s_endpgm
	.section	.rodata,"a",@progbits
	.p2align	6, 0x0
	.amdhsa_kernel _ZN9rocsolver6v33100L12stedcj_splitIfEEviPT_lS3_lPiS2_
		.amdhsa_group_segment_fixed_size 0
		.amdhsa_private_segment_fixed_size 0
		.amdhsa_kernarg_size 52
		.amdhsa_user_sgpr_count 6
		.amdhsa_user_sgpr_private_segment_buffer 1
		.amdhsa_user_sgpr_dispatch_ptr 0
		.amdhsa_user_sgpr_queue_ptr 0
		.amdhsa_user_sgpr_kernarg_segment_ptr 1
		.amdhsa_user_sgpr_dispatch_id 0
		.amdhsa_user_sgpr_flat_scratch_init 0
		.amdhsa_user_sgpr_private_segment_size 0
		.amdhsa_uses_dynamic_stack 0
		.amdhsa_system_sgpr_private_segment_wavefront_offset 0
		.amdhsa_system_sgpr_workgroup_id_x 1
		.amdhsa_system_sgpr_workgroup_id_y 0
		.amdhsa_system_sgpr_workgroup_id_z 0
		.amdhsa_system_sgpr_workgroup_info 0
		.amdhsa_system_vgpr_workitem_id 0
		.amdhsa_next_free_vgpr 9
		.amdhsa_next_free_sgpr 28
		.amdhsa_reserve_vcc 1
		.amdhsa_reserve_flat_scratch 0
		.amdhsa_float_round_mode_32 0
		.amdhsa_float_round_mode_16_64 0
		.amdhsa_float_denorm_mode_32 3
		.amdhsa_float_denorm_mode_16_64 3
		.amdhsa_dx10_clamp 1
		.amdhsa_ieee_mode 1
		.amdhsa_fp16_overflow 0
		.amdhsa_exception_fp_ieee_invalid_op 0
		.amdhsa_exception_fp_denorm_src 0
		.amdhsa_exception_fp_ieee_div_zero 0
		.amdhsa_exception_fp_ieee_overflow 0
		.amdhsa_exception_fp_ieee_underflow 0
		.amdhsa_exception_fp_ieee_inexact 0
		.amdhsa_exception_int_div_zero 0
	.end_amdhsa_kernel
	.section	.text._ZN9rocsolver6v33100L12stedcj_splitIfEEviPT_lS3_lPiS2_,"axG",@progbits,_ZN9rocsolver6v33100L12stedcj_splitIfEEviPT_lS3_lPiS2_,comdat
.Lfunc_end3:
	.size	_ZN9rocsolver6v33100L12stedcj_splitIfEEviPT_lS3_lPiS2_, .Lfunc_end3-_ZN9rocsolver6v33100L12stedcj_splitIfEEviPT_lS3_lPiS2_
                                        ; -- End function
	.set _ZN9rocsolver6v33100L12stedcj_splitIfEEviPT_lS3_lPiS2_.num_vgpr, 9
	.set _ZN9rocsolver6v33100L12stedcj_splitIfEEviPT_lS3_lPiS2_.num_agpr, 0
	.set _ZN9rocsolver6v33100L12stedcj_splitIfEEviPT_lS3_lPiS2_.numbered_sgpr, 28
	.set _ZN9rocsolver6v33100L12stedcj_splitIfEEviPT_lS3_lPiS2_.num_named_barrier, 0
	.set _ZN9rocsolver6v33100L12stedcj_splitIfEEviPT_lS3_lPiS2_.private_seg_size, 0
	.set _ZN9rocsolver6v33100L12stedcj_splitIfEEviPT_lS3_lPiS2_.uses_vcc, 1
	.set _ZN9rocsolver6v33100L12stedcj_splitIfEEviPT_lS3_lPiS2_.uses_flat_scratch, 0
	.set _ZN9rocsolver6v33100L12stedcj_splitIfEEviPT_lS3_lPiS2_.has_dyn_sized_stack, 0
	.set _ZN9rocsolver6v33100L12stedcj_splitIfEEviPT_lS3_lPiS2_.has_recursion, 0
	.set _ZN9rocsolver6v33100L12stedcj_splitIfEEviPT_lS3_lPiS2_.has_indirect_call, 0
	.section	.AMDGPU.csdata,"",@progbits
; Kernel info:
; codeLenInByte = 744
; TotalNumSgprs: 32
; NumVgprs: 9
; ScratchSize: 0
; MemoryBound: 0
; FloatMode: 240
; IeeeMode: 1
; LDSByteSize: 0 bytes/workgroup (compile time only)
; SGPRBlocks: 3
; VGPRBlocks: 2
; NumSGPRsForWavesPerEU: 32
; NumVGPRsForWavesPerEU: 9
; Occupancy: 10
; WaveLimiterHint : 0
; COMPUTE_PGM_RSRC2:SCRATCH_EN: 0
; COMPUTE_PGM_RSRC2:USER_SGPR: 6
; COMPUTE_PGM_RSRC2:TRAP_HANDLER: 0
; COMPUTE_PGM_RSRC2:TGID_X_EN: 1
; COMPUTE_PGM_RSRC2:TGID_Y_EN: 0
; COMPUTE_PGM_RSRC2:TGID_Z_EN: 0
; COMPUTE_PGM_RSRC2:TIDIG_COMP_CNT: 0
	.section	.text._ZN9rocsolver6v33100L20stedcj_divide_kernelIfEEviPT_lS3_lPi,"axG",@progbits,_ZN9rocsolver6v33100L20stedcj_divide_kernelIfEEviPT_lS3_lPi,comdat
	.globl	_ZN9rocsolver6v33100L20stedcj_divide_kernelIfEEviPT_lS3_lPi ; -- Begin function _ZN9rocsolver6v33100L20stedcj_divide_kernelIfEEviPT_lS3_lPi
	.p2align	8
	.type	_ZN9rocsolver6v33100L20stedcj_divide_kernelIfEEviPT_lS3_lPi,@function
_ZN9rocsolver6v33100L20stedcj_divide_kernelIfEEviPT_lS3_lPi: ; @_ZN9rocsolver6v33100L20stedcj_divide_kernelIfEEviPT_lS3_lPi
; %bb.0:
	s_load_dword s8, s[4:5], 0x0
	s_load_dwordx2 s[2:3], s[4:5], 0x28
	s_waitcnt lgkmcnt(0)
	s_mul_i32 s0, s8, 5
	s_add_i32 s0, s0, 2
	s_mul_i32 s0, s0, s6
	s_ashr_i32 s1, s0, 31
	s_ashr_i32 s9, s8, 31
	s_lshl_b64 s[10:11], s[0:1], 2
	s_add_u32 s14, s2, s10
	s_addc_u32 s7, s3, s11
	s_lshl_b64 s[12:13], s[8:9], 2
	s_add_u32 s0, s14, s12
	s_addc_u32 s1, s7, s13
	s_load_dword s15, s[0:1], 0x4
	s_waitcnt lgkmcnt(0)
	v_cmp_gt_i32_e32 vcc, s15, v0
	s_and_saveexec_b64 s[16:17], vcc
	s_cbranch_execz .LBB4_21
; %bb.1:
	s_load_dwordx8 s[16:23], s[4:5], 0x8
	s_ashr_i32 s24, s6, 31
	v_mov_b32_e32 v1, 0
	v_mov_b32_e32 v11, s7
	s_movk_i32 s27, 0xe8
	s_waitcnt lgkmcnt(0)
	s_mul_hi_u32 s5, s18, s6
	s_mul_i32 s25, s18, s24
	s_mul_i32 s19, s19, s6
	s_add_i32 s5, s5, s25
	s_mul_i32 s4, s18, s6
	s_add_i32 s5, s5, s19
	s_lshl_b64 s[4:5], s[4:5], 2
	s_add_u32 s16, s16, s4
	s_addc_u32 s17, s17, s5
	s_mul_hi_u32 s4, s22, s6
	s_mul_i32 s5, s22, s24
	s_add_i32 s4, s4, s5
	s_mul_i32 s5, s23, s6
	s_add_i32 s5, s4, s5
	s_mul_i32 s4, s22, s6
	s_lshl_b64 s[4:5], s[4:5], 2
	s_add_u32 s18, s20, s4
	s_addc_u32 s19, s21, s5
	s_add_u32 s20, s0, s12
	s_addc_u32 s6, s1, s13
	;; [unrolled: 2-line block ×5, first 2 shown]
	s_lshl_b64 s[4:5], s[8:9], 3
	s_add_u32 s4, s4, s10
	s_addc_u32 s5, s5, s11
	s_add_u32 s2, s2, s4
	s_addc_u32 s3, s3, s5
	;; [unrolled: 2-line block ×4, first 2 shown]
	s_mov_b64 s[2:3], 0
	s_movk_i32 s28, 0x79b
	s_movk_i32 s29, 0x128
	v_mov_b32_e32 v12, s1
	v_mov_b32_e32 v13, s6
	s_mov_b32 s5, 0
	s_branch .LBB4_3
.LBB4_2:                                ;   in Loop: Header=BB4_3 Depth=1
	s_or_b64 exec, exec, s[6:7]
	v_add_u32_e32 v0, 0x200, v0
	v_cmp_le_i32_e32 vcc, s15, v0
	s_or_b64 s[2:3], vcc, s[2:3]
	s_andn2_b64 exec, exec, s[2:3]
	s_cbranch_execz .LBB4_21
.LBB4_3:                                ; =>This Loop Header: Depth=1
                                        ;     Child Loop BB4_13 Depth 2
                                        ;       Child Loop BB4_14 Depth 3
                                        ;     Child Loop BB4_17 Depth 2
	v_lshlrev_b64 v[2:3], 2, v[0:1]
	v_mov_b32_e32 v14, 0
	v_add_co_u32_e32 v2, vcc, s14, v2
	v_addc_co_u32_e32 v3, vcc, v11, v3, vcc
	global_load_dwordx2 v[2:3], v[2:3], off
	s_waitcnt vmcnt(0)
	v_sub_u32_e32 v9, v3, v2
	v_cmp_lt_i32_e32 vcc, 2, v9
	s_and_saveexec_b64 s[6:7], vcc
	s_cbranch_execz .LBB4_11
; %bb.4:                                ;   in Loop: Header=BB4_3 Depth=1
	v_cmp_lt_u32_e32 vcc, 4, v9
	v_mov_b32_e32 v14, 1
	s_and_saveexec_b64 s[8:9], vcc
	s_cbranch_execz .LBB4_10
; %bb.5:                                ;   in Loop: Header=BB4_3 Depth=1
	v_cmp_lt_u32_e32 vcc, 32, v9
	v_mov_b32_e32 v14, 2
	;; [unrolled: 5-line block ×3, first 2 shown]
	s_and_saveexec_b64 s[12:13], vcc
; %bb.7:                                ;   in Loop: Header=BB4_3 Depth=1
	v_cmp_gt_u32_e32 vcc, s29, v9
	v_cndmask_b32_e64 v3, 7, 5, vcc
	v_cmp_gt_u32_e32 vcc, s28, v9
	v_cndmask_b32_e32 v14, 8, v3, vcc
; %bb.8:                                ;   in Loop: Header=BB4_3 Depth=1
	s_or_b64 exec, exec, s[12:13]
.LBB4_9:                                ;   in Loop: Header=BB4_3 Depth=1
	s_or_b64 exec, exec, s[10:11]
.LBB4_10:                               ;   in Loop: Header=BB4_3 Depth=1
	s_or_b64 exec, exec, s[8:9]
.LBB4_11:                               ;   in Loop: Header=BB4_3 Depth=1
	s_or_b64 exec, exec, s[6:7]
	v_ashrrev_i32_e32 v3, 31, v2
	v_lshlrev_b64 v[3:4], 2, v[2:3]
	v_add_co_u32_e32 v7, vcc, s0, v3
	v_addc_co_u32_e32 v8, vcc, v12, v4, vcc
	v_add_co_u32_e32 v5, vcc, s20, v3
	v_addc_co_u32_e32 v6, vcc, v13, v4, vcc
	v_cmp_ne_u32_e32 vcc, 0, v14
	global_store_dword v[7:8], v9, off offset:8
	s_and_saveexec_b64 s[6:7], vcc
	s_xor_b64 s[6:7], exec, s[6:7]
	s_cbranch_execz .LBB4_19
; %bb.12:                               ;   in Loop: Header=BB4_3 Depth=1
	v_mov_b32_e32 v9, s22
	v_add_co_u32_e32 v15, vcc, s21, v3
	v_addc_co_u32_e32 v16, vcc, v9, v4, vcc
	s_mov_b32 s1, 0
	s_mov_b64 s[8:9], 0
.LBB4_13:                               ;   Parent Loop BB4_3 Depth=1
                                        ; =>  This Loop Header: Depth=2
                                        ;       Child Loop BB4_14 Depth 3
	s_lshl_b32 s4, 1, s1
	s_lshl_b64 s[12:13], s[4:5], 2
	v_mov_b32_e32 v10, s13
	v_add_co_u32_e32 v9, vcc, s12, v15
	s_add_i32 s10, s4, 1
	v_addc_co_u32_e32 v10, vcc, v16, v10, vcc
	s_lshl_b32 s4, s4, 1
.LBB4_14:                               ;   Parent Loop BB4_3 Depth=1
                                        ;     Parent Loop BB4_13 Depth=2
                                        ; =>    This Inner Loop Header: Depth=3
	global_load_dword v20, v[9:10], off
	v_add_co_u32_e32 v9, vcc, -4, v9
	s_lshl_b64 s[12:13], s[4:5], 2
	v_addc_co_u32_e32 v10, vcc, -1, v10, vcc
	v_mov_b32_e32 v18, s13
	v_add_co_u32_e32 v17, vcc, s12, v7
	v_addc_co_u32_e32 v18, vcc, v8, v18, vcc
	s_add_i32 s10, s10, -1
	s_add_i32 s4, s4, -2
	s_cmp_lt_u32 s10, 2
	s_waitcnt vmcnt(0)
	v_lshrrev_b32_e32 v19, 31, v20
	v_add_u32_e32 v21, v20, v19
	v_ashrrev_i32_e32 v19, 1, v21
	v_and_b32_e32 v21, -2, v21
	v_cmp_lt_i32_e32 vcc, v21, v20
	v_addc_co_u32_e32 v20, vcc, 0, v19, vcc
	global_store_dwordx2 v[17:18], v[19:20], off
	s_cbranch_scc0 .LBB4_14
; %bb.15:                               ;   in Loop: Header=BB4_13 Depth=2
	s_add_i32 s1, s1, 1
	v_cmp_eq_u32_e32 vcc, s1, v14
	s_or_b64 s[8:9], vcc, s[8:9]
	s_andn2_b64 exec, exec, s[8:9]
	s_cbranch_execnz .LBB4_13
; %bb.16:                               ;   in Loop: Header=BB4_3 Depth=1
	s_or_b64 exec, exec, s[8:9]
	global_store_dword v[5:6], v2, off offset:8
	v_mov_b32_e32 v6, s24
	v_add_co_u32_e32 v5, vcc, s23, v3
	v_addc_co_u32_e32 v6, vcc, v6, v4, vcc
	v_mov_b32_e32 v8, s26
	v_add_co_u32_e32 v7, vcc, s25, v3
	v_addc_co_u32_e32 v8, vcc, v8, v4, vcc
	s_mov_b32 s1, 2
	s_mov_b64 s[8:9], 0
.LBB4_17:                               ;   Parent Loop BB4_3 Depth=1
                                        ; =>  This Inner Loop Header: Depth=2
	global_load_dword v3, v[7:8], off
	v_mov_b32_e32 v10, s19
	v_mov_b32_e32 v15, s17
	s_waitcnt vmcnt(0)
	v_add_u32_e32 v2, v3, v2
	v_ashrrev_i32_e32 v3, 31, v2
	v_lshlrev_b64 v[3:4], 2, v[2:3]
	v_add_co_u32_e32 v9, vcc, s18, v3
	v_addc_co_u32_e32 v10, vcc, v10, v4, vcc
	v_add_co_u32_e32 v3, vcc, s16, v3
	v_addc_co_u32_e32 v4, vcc, v15, v4, vcc
	global_load_dword v17, v[9:10], off offset:-4
	global_load_dwordx2 v[15:16], v[3:4], off offset:-4
	v_add_co_u32_e32 v7, vcc, 4, v7
	v_lshrrev_b32_e64 v9, v14, s1
	v_addc_co_u32_e32 v8, vcc, 0, v8, vcc
	s_add_i32 s1, s1, 1
	v_cmp_ne_u32_e32 vcc, 0, v9
	s_or_b64 s[8:9], vcc, s[8:9]
	global_store_dword v[5:6], v2, off
	v_add_co_u32_e32 v5, vcc, 4, v5
	v_addc_co_u32_e32 v6, vcc, 0, v6, vcc
	s_waitcnt vmcnt(1)
	v_sub_f32_e32 v10, v16, v17
	v_sub_f32_e32 v9, v15, v17
	global_store_dwordx2 v[3:4], v[9:10], off offset:-4
	s_andn2_b64 exec, exec, s[8:9]
	s_cbranch_execnz .LBB4_17
; %bb.18:                               ;   in Loop: Header=BB4_3 Depth=1
	s_or_b64 exec, exec, s[8:9]
                                        ; implicit-def: $vgpr5_vgpr6
                                        ; implicit-def: $vgpr2_vgpr3
.LBB4_19:                               ;   in Loop: Header=BB4_3 Depth=1
	s_andn2_saveexec_b64 s[6:7], s[6:7]
	s_cbranch_execz .LBB4_2
; %bb.20:                               ;   in Loop: Header=BB4_3 Depth=1
	global_store_dword v[5:6], v2, off offset:8
	s_branch .LBB4_2
.LBB4_21:
	s_endpgm
	.section	.rodata,"a",@progbits
	.p2align	6, 0x0
	.amdhsa_kernel _ZN9rocsolver6v33100L20stedcj_divide_kernelIfEEviPT_lS3_lPi
		.amdhsa_group_segment_fixed_size 0
		.amdhsa_private_segment_fixed_size 0
		.amdhsa_kernarg_size 48
		.amdhsa_user_sgpr_count 6
		.amdhsa_user_sgpr_private_segment_buffer 1
		.amdhsa_user_sgpr_dispatch_ptr 0
		.amdhsa_user_sgpr_queue_ptr 0
		.amdhsa_user_sgpr_kernarg_segment_ptr 1
		.amdhsa_user_sgpr_dispatch_id 0
		.amdhsa_user_sgpr_flat_scratch_init 0
		.amdhsa_user_sgpr_private_segment_size 0
		.amdhsa_uses_dynamic_stack 0
		.amdhsa_system_sgpr_private_segment_wavefront_offset 0
		.amdhsa_system_sgpr_workgroup_id_x 1
		.amdhsa_system_sgpr_workgroup_id_y 0
		.amdhsa_system_sgpr_workgroup_id_z 0
		.amdhsa_system_sgpr_workgroup_info 0
		.amdhsa_system_vgpr_workitem_id 0
		.amdhsa_next_free_vgpr 22
		.amdhsa_next_free_sgpr 30
		.amdhsa_reserve_vcc 1
		.amdhsa_reserve_flat_scratch 0
		.amdhsa_float_round_mode_32 0
		.amdhsa_float_round_mode_16_64 0
		.amdhsa_float_denorm_mode_32 3
		.amdhsa_float_denorm_mode_16_64 3
		.amdhsa_dx10_clamp 1
		.amdhsa_ieee_mode 1
		.amdhsa_fp16_overflow 0
		.amdhsa_exception_fp_ieee_invalid_op 0
		.amdhsa_exception_fp_denorm_src 0
		.amdhsa_exception_fp_ieee_div_zero 0
		.amdhsa_exception_fp_ieee_overflow 0
		.amdhsa_exception_fp_ieee_underflow 0
		.amdhsa_exception_fp_ieee_inexact 0
		.amdhsa_exception_int_div_zero 0
	.end_amdhsa_kernel
	.section	.text._ZN9rocsolver6v33100L20stedcj_divide_kernelIfEEviPT_lS3_lPi,"axG",@progbits,_ZN9rocsolver6v33100L20stedcj_divide_kernelIfEEviPT_lS3_lPi,comdat
.Lfunc_end4:
	.size	_ZN9rocsolver6v33100L20stedcj_divide_kernelIfEEviPT_lS3_lPi, .Lfunc_end4-_ZN9rocsolver6v33100L20stedcj_divide_kernelIfEEviPT_lS3_lPi
                                        ; -- End function
	.set _ZN9rocsolver6v33100L20stedcj_divide_kernelIfEEviPT_lS3_lPi.num_vgpr, 22
	.set _ZN9rocsolver6v33100L20stedcj_divide_kernelIfEEviPT_lS3_lPi.num_agpr, 0
	.set _ZN9rocsolver6v33100L20stedcj_divide_kernelIfEEviPT_lS3_lPi.numbered_sgpr, 30
	.set _ZN9rocsolver6v33100L20stedcj_divide_kernelIfEEviPT_lS3_lPi.num_named_barrier, 0
	.set _ZN9rocsolver6v33100L20stedcj_divide_kernelIfEEviPT_lS3_lPi.private_seg_size, 0
	.set _ZN9rocsolver6v33100L20stedcj_divide_kernelIfEEviPT_lS3_lPi.uses_vcc, 1
	.set _ZN9rocsolver6v33100L20stedcj_divide_kernelIfEEviPT_lS3_lPi.uses_flat_scratch, 0
	.set _ZN9rocsolver6v33100L20stedcj_divide_kernelIfEEviPT_lS3_lPi.has_dyn_sized_stack, 0
	.set _ZN9rocsolver6v33100L20stedcj_divide_kernelIfEEviPT_lS3_lPi.has_recursion, 0
	.set _ZN9rocsolver6v33100L20stedcj_divide_kernelIfEEviPT_lS3_lPi.has_indirect_call, 0
	.section	.AMDGPU.csdata,"",@progbits
; Kernel info:
; codeLenInByte = 856
; TotalNumSgprs: 34
; NumVgprs: 22
; ScratchSize: 0
; MemoryBound: 0
; FloatMode: 240
; IeeeMode: 1
; LDSByteSize: 0 bytes/workgroup (compile time only)
; SGPRBlocks: 4
; VGPRBlocks: 5
; NumSGPRsForWavesPerEU: 34
; NumVGPRsForWavesPerEU: 22
; Occupancy: 10
; WaveLimiterHint : 1
; COMPUTE_PGM_RSRC2:SCRATCH_EN: 0
; COMPUTE_PGM_RSRC2:USER_SGPR: 6
; COMPUTE_PGM_RSRC2:TRAP_HANDLER: 0
; COMPUTE_PGM_RSRC2:TGID_X_EN: 1
; COMPUTE_PGM_RSRC2:TGID_Y_EN: 0
; COMPUTE_PGM_RSRC2:TGID_Z_EN: 0
; COMPUTE_PGM_RSRC2:TIDIG_COMP_CNT: 0
	.section	.text._ZN9rocsolver6v33100L19stedcj_solve_kernelIfEEviPT_lS3_lS3_iilPiS3_S4_S2_S2_S2_,"axG",@progbits,_ZN9rocsolver6v33100L19stedcj_solve_kernelIfEEviPT_lS3_lS3_iilPiS3_S4_S2_S2_S2_,comdat
	.globl	_ZN9rocsolver6v33100L19stedcj_solve_kernelIfEEviPT_lS3_lS3_iilPiS3_S4_S2_S2_S2_ ; -- Begin function _ZN9rocsolver6v33100L19stedcj_solve_kernelIfEEviPT_lS3_lS3_iilPiS3_S4_S2_S2_S2_
	.p2align	8
	.type	_ZN9rocsolver6v33100L19stedcj_solve_kernelIfEEviPT_lS3_lS3_iilPiS3_S4_S2_S2_S2_,@function
_ZN9rocsolver6v33100L19stedcj_solve_kernelIfEEviPT_lS3_lS3_iilPiS3_S4_S2_S2_S2_: ; @_ZN9rocsolver6v33100L19stedcj_solve_kernelIfEEviPT_lS3_lS3_iilPiS3_S4_S2_S2_S2_
; %bb.0:
	s_load_dwordx4 s[28:31], s[4:5], 0x28
	s_load_dwordx8 s[12:19], s[4:5], 0x38
	s_mov_b32 s34, s7
	s_mov_b64 s[0:1], 0
	s_waitcnt lgkmcnt(0)
	s_cmp_lg_u64 s[28:29], 0
	s_cbranch_scc0 .LBB5_116
; %bb.1:
	s_ashr_i32 s9, s8, 31
	s_mul_hi_u32 s7, s12, s8
	s_mul_i32 s10, s12, s9
	s_add_i32 s7, s7, s10
	s_mul_i32 s10, s13, s8
	s_add_i32 s11, s7, s10
	s_mul_i32 s10, s12, s8
	s_ashr_i32 s3, s30, 31
	s_lshl_b64 s[10:11], s[10:11], 2
	s_mov_b32 s2, s30
	s_add_u32 s7, s28, s10
	s_addc_u32 s10, s29, s11
	s_lshl_b64 s[2:3], s[2:3], 2
	s_add_u32 s28, s7, s2
	s_addc_u32 s29, s10, s3
	s_andn2_b64 vcc, exec, s[0:1]
	s_cbranch_vccnz .LBB5_3
.LBB5_2:
	s_ashr_i32 s9, s8, 31
                                        ; implicit-def: $sgpr28_sgpr29
.LBB5_3:
	s_load_dword s36, s[4:5], 0x0
	s_waitcnt lgkmcnt(0)
	s_mul_i32 s0, s36, 5
	s_add_i32 s0, s0, 2
	s_mul_i32 s0, s0, s8
	s_ashr_i32 s1, s0, 31
	s_lshl_b64 s[0:1], s[0:1], 2
	s_add_u32 s30, s18, s0
	s_addc_u32 s33, s19, s1
	s_ashr_i32 s37, s36, 31
	s_lshl_b64 s[2:3], s[36:37], 2
	s_add_u32 s0, s30, s2
	s_addc_u32 s1, s33, s3
	s_load_dword s37, s[0:1], 0x4
	s_waitcnt lgkmcnt(0)
	s_cmp_ge_i32 s34, s37
	s_cbranch_scc1 .LBB5_115
; %bb.4:
	s_load_dwordx8 s[20:27], s[4:5], 0x8
	v_mov_b32_e32 v1, 0x800000
	v_lshlrev_b32_e32 v17, 1, v0
	v_mov_b32_e32 v18, 1.0
	s_mov_b32 s70, 0x7f800000
	s_waitcnt lgkmcnt(0)
	s_mul_i32 s7, s22, s9
	s_mul_hi_u32 s11, s22, s8
	s_mul_i32 s12, s23, s8
	s_add_i32 s7, s11, s7
	s_mul_i32 s10, s22, s8
	s_add_i32 s11, s7, s12
	s_lshl_b64 s[10:11], s[10:11], 2
	s_mul_i32 s13, s26, s9
	s_add_u32 s60, s20, s10
	s_mul_hi_u32 s7, s26, s8
	s_load_dword s12, s[4:5], 0x58
	s_addc_u32 s61, s21, s11
	s_add_i32 s7, s7, s13
	s_mul_i32 s10, s27, s8
	s_add_i32 s11, s7, s10
	s_mul_i32 s10, s26, s8
	s_lshl_b64 s[10:11], s[10:11], 2
	s_add_u32 s62, s24, s10
	s_addc_u32 s63, s25, s11
	s_waitcnt lgkmcnt(0)
	v_div_scale_f32 v2, s[10:11], s12, s12, v1
	s_lshl_b64 s[4:5], s[8:9], 2
	s_add_u32 s18, s14, s4
	s_mov_b32 s4, 0x800000
	v_mov_b32_e32 v3, s12
	v_div_scale_f32 v3, vcc, s4, v3, s4
	s_mul_i32 s4, s36, s36
	s_addc_u32 s19, s15, s5
	s_or_b32 s5, s4, 2
	s_mul_i32 s8, s5, s8
	s_ashr_i32 s9, s8, 31
	s_lshl_b64 s[8:9], s[8:9], 2
	s_add_u32 s64, s16, s8
	s_addc_u32 s65, s17, s9
	v_rcp_f32_e32 v4, v2
	s_lshl_b32 s7, s36, 2
	s_add_i32 s66, s7, 0
	s_lshr_b32 s7, s36, 31
	v_fma_f32 v5, -v2, v4, 1.0
	v_fmac_f32_e32 v4, v5, v4
	v_mul_f32_e32 v5, v3, v4
	v_fma_f32 v6, -v2, v5, v3
	v_fmac_f32_e32 v5, v6, v4
	v_fma_f32 v2, -v2, v5, v3
	v_div_fmas_f32 v2, v2, v4, v5
	s_add_i32 s7, s36, s7
	s_and_b32 s7, s7, 0x3ffffffe
	s_sub_i32 s7, s36, s7
	s_lshl_b32 s7, s7, 2
	s_add_i32 s66, s66, s7
	s_add_u32 s8, s0, s2
	s_addc_u32 s9, s1, s3
	s_ashr_i32 s7, s6, 31
	s_lshl_b64 s[2:3], s[6:7], 2
	s_add_u32 s7, s0, s2
	s_addc_u32 s67, s1, s3
	s_mov_b32 s5, 0
	s_add_u32 s68, s8, s2
	s_addc_u32 s69, s9, s3
	s_lshl_b64 s[0:1], s[4:5], 2
	s_add_u32 s16, s64, s0
	s_addc_u32 s17, s65, s1
	v_div_fixup_f32 v16, v2, s12, v1
	v_mov_b32_e32 v2, 0
	s_mov_b32 s71, 0xf800000
	v_mov_b32_e32 v19, 0x260
	v_mov_b32_e32 v20, 0x7f800000
	;; [unrolled: 1-line block ×3, first 2 shown]
	s_branch .LBB5_7
.LBB5_5:                                ;   in Loop: Header=BB5_7 Depth=1
	s_or_b64 exec, exec, s[2:3]
	s_waitcnt vmcnt(0)
	s_barrier
	s_barrier
.LBB5_6:                                ;   in Loop: Header=BB5_7 Depth=1
	s_add_i32 s34, s34, 8
	s_cmp_ge_i32 s34, s37
	s_cbranch_scc1 .LBB5_115
.LBB5_7:                                ; =>This Loop Header: Depth=1
                                        ;     Child Loop BB5_16 Depth 2
                                        ;     Child Loop BB5_26 Depth 2
                                        ;       Child Loop BB5_28 Depth 3
                                        ;     Child Loop BB5_33 Depth 2
                                        ;     Child Loop BB5_36 Depth 2
	;; [unrolled: 1-line block ×3, first 2 shown]
                                        ;       Child Loop BB5_43 Depth 3
                                        ;         Child Loop BB5_67 Depth 4
                                        ;         Child Loop BB5_76 Depth 4
                                        ;     Child Loop BB5_94 Depth 2
                                        ;       Child Loop BB5_98 Depth 3
                                        ;         Child Loop BB5_100 Depth 4
                                        ;       Child Loop BB5_106 Depth 3
                                        ;     Child Loop BB5_114 Depth 2
	s_ashr_i32 s35, s34, 31
	s_lshl_b64 s[0:1], s[34:35], 2
	s_add_u32 s0, s30, s0
	s_addc_u32 s1, s33, s1
	global_load_dwordx2 v[3:4], v2, s[0:1]
	s_mov_b32 s2, 0
	s_waitcnt vmcnt(0)
	v_readfirstlane_b32 s0, v3
	v_readfirstlane_b32 s1, v4
	s_sub_i32 s1, s1, s0
	s_cmp_lt_i32 s1, 3
	s_cbranch_scc1 .LBB5_12
; %bb.8:                                ;   in Loop: Header=BB5_7 Depth=1
	s_cmp_lt_u32 s1, 5
	s_mov_b32 s2, 1
	s_cbranch_scc1 .LBB5_12
; %bb.9:                                ;   in Loop: Header=BB5_7 Depth=1
	s_cmp_lt_u32 s1, 33
	s_mov_b32 s2, 2
	s_cbranch_scc1 .LBB5_12
; %bb.10:                               ;   in Loop: Header=BB5_7 Depth=1
	s_cmpk_lt_u32 s1, 0xe9
	s_mov_b32 s2, 4
	s_cbranch_scc1 .LBB5_12
; %bb.11:                               ;   in Loop: Header=BB5_7 Depth=1
	s_cmpk_lt_u32 s1, 0x128
	s_cselect_b32 s2, 5, 7
	s_cmpk_lt_u32 s1, 0x79b
	s_cselect_b32 s2, s2, 8
.LBB5_12:                               ;   in Loop: Header=BB5_7 Depth=1
	s_lshl_b32 s1, 1, s2
	s_cmp_ge_i32 s6, s1
	s_cbranch_scc1 .LBB5_6
; %bb.13:                               ;   in Loop: Header=BB5_7 Depth=1
	s_ashr_i32 s1, s0, 31
	s_lshl_b64 s[0:1], s[0:1], 2
	s_add_u32 s2, s7, s0
	s_addc_u32 s3, s67, s1
	s_add_u32 s0, s68, s0
	s_addc_u32 s1, s69, s1
	global_load_dword v1, v2, s[2:3] offset:8
	global_load_dword v3, v2, s[0:1] offset:8
	s_waitcnt vmcnt(1)
	v_mul_lo_u32 v6, v1, v1
	s_waitcnt vmcnt(0)
	v_readfirstlane_b32 s8, v3
	s_ashr_i32 s9, s8, 31
	s_lshl_b64 s[22:23], s[8:9], 2
	s_mul_i32 s0, s8, s31
	s_add_u32 s2, s28, s22
	s_addc_u32 s3, s29, s23
	s_ashr_i32 s1, s0, 31
	s_lshl_b64 s[4:5], s[0:1], 2
	s_add_u32 s35, s2, s4
	v_readfirstlane_b32 s20, v1
	s_addc_u32 s72, s3, s5
	v_cmp_lt_u32_e32 vcc, v0, v6
	s_and_saveexec_b64 s[10:11], vcc
	s_cbranch_execz .LBB5_22
; %bb.14:                               ;   in Loop: Header=BB5_7 Depth=1
	s_add_u32 s9, s60, s22
	s_addc_u32 s21, s61, s23
	s_add_u32 s24, s62, s22
	s_addc_u32 s25, s63, s23
	s_abs_i32 s26, s20
	v_cvt_f32_u32_e32 v1, s26
	s_sub_i32 s0, 0, s26
	s_mov_b64 s[12:13], 0
	s_ashr_i32 s27, s20, 31
	v_rcp_iflag_f32_e32 v1, v1
	s_sub_i32 s38, 0, s20
	s_sub_i32 s39, s31, s20
	v_mul_f32_e32 v1, 0x4f7ffffe, v1
	v_cvt_u32_f32_e32 v1, v1
	v_mul_lo_u32 v3, s0, v1
	v_mul_hi_u32 v3, v1, v3
	v_add_u32_e32 v7, v1, v3
	v_mov_b32_e32 v3, v0
	s_branch .LBB5_16
.LBB5_15:                               ;   in Loop: Header=BB5_16 Depth=2
	s_or_b64 exec, exec, s[0:1]
	v_mad_u64_u32 v[4:5], s[0:1], s39, v1, v[3:4]
	v_mov_b32_e32 v1, s72
	v_add_u32_e32 v3, 0x200, v3
	v_ashrrev_i32_e32 v5, 31, v4
	v_lshlrev_b64 v[4:5], 2, v[4:5]
	v_add_co_u32_e32 v4, vcc, s35, v4
	v_addc_co_u32_e32 v5, vcc, v1, v5, vcc
	v_cmp_ge_u32_e32 vcc, v3, v6
	s_or_b64 s[12:13], vcc, s[12:13]
	s_waitcnt vmcnt(0)
	global_store_dword v[4:5], v8, off
	s_andn2_b64 exec, exec, s[12:13]
	s_cbranch_execz .LBB5_22
.LBB5_16:                               ;   Parent Loop BB5_7 Depth=1
                                        ; =>  This Inner Loop Header: Depth=2
	v_mul_hi_u32 v1, v3, v7
	v_mul_lo_u32 v4, v1, s26
	v_add_u32_e32 v5, 1, v1
	v_sub_u32_e32 v4, v3, v4
	v_cmp_le_u32_e32 vcc, s26, v4
	v_cndmask_b32_e32 v1, v1, v5, vcc
	v_subrev_u32_e32 v5, s26, v4
	v_cndmask_b32_e32 v4, v4, v5, vcc
	v_add_u32_e32 v5, 1, v1
	v_cmp_le_u32_e32 vcc, s26, v4
	v_cndmask_b32_e32 v1, v1, v5, vcc
	v_xor_b32_e32 v1, s27, v1
	v_subrev_u32_e32 v1, s27, v1
	v_mad_u64_u32 v[4:5], s[0:1], s38, v1, v[3:4]
	v_add_u32_e32 v5, 1, v1
	v_add_u32_e32 v8, -1, v1
	v_cmp_ne_u32_e64 s[0:1], v4, v5
	v_cmp_ne_u32_e64 s[2:3], v4, v8
	v_cmp_eq_u32_e32 vcc, v4, v5
	s_and_b64 s[0:1], s[0:1], s[2:3]
                                        ; implicit-def: $vgpr8
	s_and_saveexec_b64 s[2:3], s[0:1]
	s_xor_b64 s[2:3], exec, s[2:3]
	s_cbranch_execz .LBB5_20
; %bb.17:                               ;   in Loop: Header=BB5_16 Depth=2
	v_cmp_eq_u32_e64 s[0:1], v4, v1
	v_mov_b32_e32 v8, 0
	s_and_saveexec_b64 s[14:15], s[0:1]
	s_cbranch_execz .LBB5_19
; %bb.18:                               ;   in Loop: Header=BB5_16 Depth=2
	v_lshlrev_b64 v[4:5], 2, v[1:2]
	v_mov_b32_e32 v8, s21
	v_add_co_u32_e64 v4, s[0:1], s9, v4
	v_addc_co_u32_e64 v5, s[0:1], v8, v5, s[0:1]
	global_load_dword v8, v[4:5], off
.LBB5_19:                               ;   in Loop: Header=BB5_16 Depth=2
	s_or_b64 exec, exec, s[14:15]
                                        ; implicit-def: $vgpr4_vgpr5
.LBB5_20:                               ;   in Loop: Header=BB5_16 Depth=2
	s_andn2_saveexec_b64 s[0:1], s[2:3]
	s_cbranch_execz .LBB5_15
; %bb.21:                               ;   in Loop: Header=BB5_16 Depth=2
	v_ashrrev_i32_e32 v5, 31, v1
	v_cndmask_b32_e32 v5, 0, v5, vcc
	v_cndmask_b32_e32 v4, v4, v1, vcc
	v_lshlrev_b64 v[4:5], 2, v[4:5]
	s_waitcnt vmcnt(0)
	v_mov_b32_e32 v8, s25
	v_add_co_u32_e32 v4, vcc, s24, v4
	v_addc_co_u32_e32 v5, vcc, v8, v5, vcc
	global_load_dword v8, v[4:5], off
	s_branch .LBB5_15
.LBB5_22:                               ;   in Loop: Header=BB5_7 Depth=1
	s_or_b64 exec, exec, s[10:11]
	s_lshr_b32 s0, s20, 31
	s_add_i32 s0, s20, s0
	s_and_b32 s0, s0, -2
	s_sub_i32 s21, s20, s0
	s_add_i32 s21, s21, s20
	s_lshr_b32 s0, s21, 31
	s_add_i32 s0, s21, s0
	s_ashr_i32 s24, s0, 1
	s_min_i32 s76, s24, 0x80
	s_abs_i32 s0, s76
	v_cvt_f32_u32_e32 v1, s0
	s_sub_i32 s2, 0, s0
	s_lshl_b32 s27, s24, 2
	s_add_i32 s25, s66, s27
	v_rcp_iflag_f32_e32 v1, v1
	s_ashr_i32 s1, s76, 31
	s_waitcnt vmcnt(0)
	s_barrier
	v_mul_f32_e32 v1, 0x4f7ffffe, v1
	v_cvt_u32_f32_e32 v1, v1
	v_readfirstlane_b32 s3, v1
	s_mul_i32 s2, s2, s3
	s_mul_hi_u32 s2, s3, s2
	s_add_i32 s3, s3, s2
	s_lshr_b32 s2, s3, 23
	s_mul_i32 s3, s2, s0
	s_sub_i32 s3, 0x200, s3
	s_add_i32 s9, s2, 1
	s_sub_i32 s10, s3, s0
	s_cmp_ge_u32 s3, s0
	s_cselect_b32 s2, s9, s2
	s_cselect_b32 s3, s10, s3
	s_add_i32 s9, s2, 1
	s_cmp_ge_u32 s3, s0
	s_cselect_b32 s0, s9, s2
	s_xor_b32 s0, s0, s1
	s_sub_i32 s26, s0, s1
	s_min_i32 s73, s24, s26
	s_abs_i32 s40, s73
	v_cvt_f32_u32_e32 v1, s40
	s_sub_i32 s41, 0, s40
	s_ashr_i32 s44, s73, 31
	s_mul_i32 s0, s8, s36
	v_rcp_iflag_f32_e32 v1, v1
	s_add_u32 s2, s64, s22
	s_addc_u32 s3, s65, s23
	s_ashr_i32 s1, s0, 31
	v_mul_f32_e32 v1, 0x4f7ffffe, v1
	v_cvt_u32_f32_e32 v23, v1
	s_lshl_b64 s[8:9], s[0:1], 2
	s_add_u32 s74, s2, s8
	s_addc_u32 s75, s3, s9
	v_mul_lo_u32 v1, s41, v23
	v_mul_hi_u32 v1, v23, v1
	v_add_u32_e32 v1, v23, v1
	v_mul_hi_u32 v1, v0, v1
	v_mul_lo_u32 v3, v1, s40
	v_add_u32_e32 v4, 1, v1
	v_sub_u32_e32 v3, v0, v3
	v_cmp_le_u32_e32 vcc, s40, v3
	v_cndmask_b32_e32 v1, v1, v4, vcc
	v_subrev_u32_e32 v4, s40, v3
	v_cndmask_b32_e32 v3, v3, v4, vcc
	v_add_u32_e32 v4, 1, v1
	v_cmp_le_u32_e32 vcc, s40, v3
	v_cndmask_b32_e32 v1, v1, v4, vcc
	v_xor_b32_e32 v24, s44, v1
	v_subrev_u32_e32 v22, s44, v24
	v_mul_lo_u32 v1, v22, s73
	v_cmp_eq_u32_e64 s[0:1], 0, v22
	v_sub_u32_e32 v3, v0, v1
	s_and_saveexec_b64 s[2:3], s[0:1]
	s_cbranch_execz .LBB5_34
; %bb.23:                               ;   in Loop: Header=BB5_7 Depth=1
	v_cmp_gt_i32_e32 vcc, s20, v3
	v_mov_b32_e32 v25, 0
	v_mov_b32_e32 v26, 0
	s_and_saveexec_b64 s[10:11], vcc
	s_cbranch_execz .LBB5_31
; %bb.24:                               ;   in Loop: Header=BB5_7 Depth=1
	s_add_i32 s38, s20, -1
	s_add_u32 s4, s22, s4
	s_addc_u32 s5, s23, s5
	s_add_u32 s39, s28, s4
	s_addc_u32 s42, s29, s5
	;; [unrolled: 2-line block ×3, first 2 shown]
	v_add_u32_e32 v5, 1, v0
	s_add_u32 s45, s64, s4
	v_sub_u32_e32 v5, v5, v1
	v_mul_lo_u32 v4, s31, v3
	s_addc_u32 s46, s65, s5
	v_mad_u64_u32 v[6:7], s[4:5], s20, v5, -1
	s_mul_i32 s4, s20, s38
	v_add_u32_e32 v5, s4, v0
	s_mul_i32 s4, s31, s38
	v_sub_u32_e32 v27, v5, v1
	v_add_u32_e32 v5, s4, v0
	v_add_u32_e32 v4, s38, v4
	s_mul_i32 s43, s31, s73
	s_mul_i32 s47, s20, s73
	v_sub_u32_e32 v28, v5, v1
	v_mov_b32_e32 v25, 0
	s_mov_b64 s[4:5], 0
	v_mov_b32_e32 v1, v3
	v_mov_b32_e32 v26, 0
	s_branch .LBB5_26
.LBB5_25:                               ;   in Loop: Header=BB5_26 Depth=2
	s_or_b64 exec, exec, s[12:13]
	v_add_u32_e32 v1, s73, v1
	v_cmp_le_i32_e32 vcc, s20, v1
	v_fmac_f32_e32 v26, v29, v29
	v_add_u32_e32 v4, s43, v4
	v_add_u32_e32 v6, s47, v6
	v_add_u32_e32 v27, s73, v27
	s_or_b64 s[4:5], vcc, s[4:5]
	v_add_u32_e32 v28, s73, v28
	s_andn2_b64 exec, exec, s[4:5]
	s_cbranch_execz .LBB5_30
.LBB5_26:                               ;   Parent Loop BB5_7 Depth=1
                                        ; =>  This Loop Header: Depth=2
                                        ;       Child Loop BB5_28 Depth 3
	v_mad_u64_u32 v[7:8], s[12:13], v1, s31, v[1:2]
	v_mov_b32_e32 v5, s72
	v_mad_u64_u32 v[9:10], s[12:13], v1, s20, v[1:2]
	v_ashrrev_i32_e32 v8, 31, v7
	v_lshlrev_b64 v[7:8], 2, v[7:8]
	v_ashrrev_i32_e32 v10, 31, v9
	v_add_co_u32_e32 v7, vcc, s35, v7
	v_addc_co_u32_e32 v8, vcc, v5, v8, vcc
	global_load_dword v29, v[7:8], off
	v_lshlrev_b64 v[9:10], 2, v[9:10]
	v_mov_b32_e32 v5, s75
	v_add_co_u32_e32 v9, vcc, s74, v9
	v_addc_co_u32_e32 v10, vcc, v5, v10, vcc
	v_cmp_gt_i32_e32 vcc, s38, v1
	s_waitcnt vmcnt(0)
	global_store_dword v[9:10], v29, off
	global_store_dword v[7:8], v18, off
	s_and_saveexec_b64 s[12:13], vcc
	s_cbranch_execz .LBB5_25
; %bb.27:                               ;   in Loop: Header=BB5_26 Depth=2
	v_ashrrev_i32_e32 v5, 31, v4
	v_lshlrev_b64 v[8:9], 2, v[4:5]
	v_ashrrev_i32_e32 v7, 31, v6
	v_mov_b32_e32 v5, s42
	v_add_co_u32_e32 v8, vcc, s39, v8
	v_lshlrev_b64 v[10:11], 2, v[6:7]
	v_addc_co_u32_e32 v9, vcc, v5, v9, vcc
	v_mov_b32_e32 v5, s46
	v_add_co_u32_e32 v10, vcc, s45, v10
	v_addc_co_u32_e32 v11, vcc, v5, v11, vcc
	s_mov_b64 s[14:15], 0
	v_mov_b32_e32 v12, v28
	v_mov_b32_e32 v14, v27
	s_mov_b32 s48, s38
.LBB5_28:                               ;   Parent Loop BB5_7 Depth=1
                                        ;     Parent Loop BB5_26 Depth=2
                                        ; =>    This Inner Loop Header: Depth=3
	v_ashrrev_i32_e32 v13, 31, v12
	v_lshlrev_b64 v[30:31], 2, v[12:13]
	v_mov_b32_e32 v5, s72
	v_add_co_u32_e32 v30, vcc, s35, v30
	v_addc_co_u32_e32 v31, vcc, v5, v31, vcc
	global_load_dword v5, v[30:31], off
	v_ashrrev_i32_e32 v15, 31, v14
	s_add_i32 s48, s48, -1
	v_lshlrev_b64 v[32:33], 2, v[14:15]
	v_cmp_le_i32_e32 vcc, s48, v1
	v_mov_b32_e32 v7, s75
	s_or_b64 s[14:15], vcc, s[14:15]
	v_add_co_u32_e32 v32, vcc, s74, v32
	v_addc_co_u32_e32 v33, vcc, v7, v33, vcc
	v_subrev_u32_e32 v14, s20, v14
	v_subrev_u32_e32 v12, s31, v12
	s_waitcnt vmcnt(0)
	global_store_dword v[32:33], v5, off
	global_store_dword v[10:11], v5, off
	;; [unrolled: 1-line block ×4, first 2 shown]
	v_add_co_u32_e32 v8, vcc, -4, v8
	v_addc_co_u32_e32 v9, vcc, -1, v9, vcc
	v_mul_f32_e32 v7, v5, v5
	v_add_co_u32_e32 v10, vcc, -4, v10
	v_addc_co_u32_e32 v11, vcc, -1, v11, vcc
	v_fmac_f32_e32 v25, 2.0, v7
	s_andn2_b64 exec, exec, s[14:15]
	s_cbranch_execnz .LBB5_28
; %bb.29:                               ;   in Loop: Header=BB5_26 Depth=2
	s_or_b64 exec, exec, s[14:15]
	s_branch .LBB5_25
.LBB5_30:                               ;   in Loop: Header=BB5_7 Depth=1
	s_or_b64 exec, exec, s[4:5]
.LBB5_31:                               ;   in Loop: Header=BB5_7 Depth=1
	s_or_b64 exec, exec, s[10:11]
	v_lshlrev_b32_e32 v1, 2, v3
	v_add_u32_e32 v4, s66, v1
	v_add_u32_e32 v1, s25, v1
	v_cmp_gt_i32_e32 vcc, s24, v3
	ds_write_b32 v4, v25
	ds_write_b32 v1, v26
	s_and_b64 exec, exec, vcc
	s_cbranch_execz .LBB5_34
; %bb.32:                               ;   in Loop: Header=BB5_7 Depth=1
	s_lshl_b32 s10, s73, 2
	s_lshl_b32 s11, s73, 1
	s_mov_b64 s[4:5], 0
	v_mov_b32_e32 v1, v17
	v_lshl_add_u32 v4, v0, 2, 0
	v_mov_b32_e32 v5, v3
.LBB5_33:                               ;   Parent Loop BB5_7 Depth=1
                                        ; =>  This Inner Loop Header: Depth=2
	v_add_u32_e32 v5, s73, v5
	v_cmp_le_i32_e32 vcc, s24, v5
	ds_write_b32 v4, v1
	v_add_u32_e32 v6, 1, v1
	v_add_u32_e32 v7, s27, v4
	;; [unrolled: 1-line block ×4, first 2 shown]
	s_or_b64 s[4:5], vcc, s[4:5]
	ds_write_b32 v7, v6
	s_andn2_b64 exec, exec, s[4:5]
	s_cbranch_execnz .LBB5_33
.LBB5_34:                               ;   in Loop: Header=BB5_7 Depth=1
	s_or_b64 exec, exec, s[2:3]
	s_cmp_gt_i32 s73, 0
	s_cselect_b64 s[38:39], -1, 0
	s_cmp_lt_i32 s73, 1
	v_mov_b32_e32 v4, 0
	v_mov_b32_e32 v1, 0
	s_waitcnt vmcnt(0) lgkmcnt(0)
	s_barrier
	s_cbranch_scc1 .LBB5_37
; %bb.35:                               ;   in Loop: Header=BB5_7 Depth=1
	s_mov_b32 s2, s73
	s_mov_b32 s3, s66
.LBB5_36:                               ;   Parent Loop BB5_7 Depth=1
                                        ; =>  This Inner Loop Header: Depth=2
	s_add_i32 s4, s3, s27
	v_mov_b32_e32 v5, s3
	v_mov_b32_e32 v6, s4
	ds_read_b32 v5, v5
	ds_read_b32 v6, v6
	s_add_i32 s3, s3, 4
	s_add_i32 s2, s2, -1
	s_cmp_lg_u32 s2, 0
	s_waitcnt lgkmcnt(1)
	v_add_f32_e32 v1, v1, v5
	s_waitcnt lgkmcnt(0)
	v_add_f32_e32 v4, v4, v6
	s_cbranch_scc1 .LBB5_36
.LBB5_37:                               ;   in Loop: Header=BB5_7 Depth=1
	v_add_f32_e32 v4, v4, v1
	v_mul_f32_e32 v4, 0, v4
	v_mul_f32_e32 v11, 0, v4
	v_cmp_ngt_f32_e32 vcc, v1, v11
	s_mov_b32 s10, 0
	s_cbranch_vccnz .LBB5_109
; %bb.38:                               ;   in Loop: Header=BB5_7 Depth=1
	v_readfirstlane_b32 s4, v23
	s_mul_i32 s41, s41, s4
	s_add_i32 s2, s24, -1
	s_mul_hi_u32 s5, s4, s41
	s_xor_b32 s3, s2, s73
	s_abs_i32 s2, s2
	s_add_i32 s4, s4, s5
	s_mul_hi_u32 s4, s2, s4
	s_mul_i32 s5, s4, s40
	s_sub_i32 s2, s2, s5
	s_add_i32 s77, s27, 0
	s_ashr_i32 s3, s3, 31
	s_add_i32 s5, s4, 1
	s_sub_i32 s10, s2, s40
	s_cmp_ge_u32 s2, s40
	s_cselect_b32 s4, s5, s4
	s_cselect_b32 s2, s10, s2
	s_add_i32 s5, s4, 1
	s_cmp_ge_u32 s2, s40
	s_cselect_b32 s2, s5, s4
	s_xor_b32 s2, s2, s3
	s_sub_i32 s79, s2, s3
	s_add_i32 s80, s21, -1
	s_cmp_gt_i32 s21, 1
	s_cselect_b64 s[40:41], -1, 0
	s_cmp_gt_i32 s79, -1
	v_lshlrev_b32_e32 v1, 2, v3
	s_cselect_b64 s[42:43], -1, 0
	v_add_u32_e32 v12, s66, v1
	v_add_u32_e32 v13, s25, v1
	v_lshlrev_b32_e32 v1, 1, v24
	s_lshl_b32 s10, s44, 1
	v_subrev_u32_e32 v14, s10, v1
	s_mul_i32 s10, s20, s76
	s_add_i32 s81, s20, 1
	s_lshl_b32 s82, s76, 1
	s_lshl_b32 s83, s10, 1
	s_add_u32 s8, s22, s8
	s_addc_u32 s9, s23, s9
	s_add_u32 s8, s64, s8
	v_ashrrev_i32_e32 v4, 31, v3
	s_addc_u32 s9, s65, s9
	s_ashr_i32 s27, s26, 31
	v_mov_b32_e32 v6, s26
	v_lshlrev_b64 v[4:5], 2, v[3:4]
	s_ashr_i32 s25, s24, 31
	v_mov_b32_e32 v7, s27
	v_or_b32_e32 v15, 1, v14
	v_cmp_lt_i64_e32 vcc, s[24:25], v[6:7]
	v_mul_lo_u32 v23, s20, v15
	v_mul_lo_u32 v24, s20, v14
	v_mov_b32_e32 v1, s9
	v_add_co_u32_e64 v4, s[8:9], s8, v4
	v_addc_co_u32_e64 v5, s[8:9], v1, v5, s[8:9]
	s_and_b64 s[8:9], vcc, exec
	s_cselect_b32 s9, s25, s27
	s_cselect_b32 s8, s24, s26
	s_ashr_i32 s21, s20, 31
	s_mov_b32 s78, 0
	v_cmp_gt_i32_e64 s[2:3], s24, v22
	v_cmp_gt_i32_e64 s[4:5], s20, v3
	s_lshl_b64 s[44:45], s[8:9], 2
	s_lshl_b64 s[46:47], s[20:21], 2
                                        ; implicit-def: $vgpr10
                                        ; implicit-def: $vgpr28
                                        ; implicit-def: $vgpr25
	s_andn2_b64 vcc, exec, s[40:41]
	s_cbranch_vccnz .LBB5_94
.LBB5_39:                               ;   in Loop: Header=BB5_7 Depth=1
	s_mov_b32 s21, 0
	s_branch .LBB5_41
.LBB5_40:                               ;   in Loop: Header=BB5_41 Depth=2
	s_add_i32 s21, s21, 1
	s_cmp_eq_u32 s21, s80
	s_cbranch_scc1 .LBB5_94
.LBB5_41:                               ;   Parent Loop BB5_7 Depth=1
                                        ; =>  This Loop Header: Depth=2
                                        ;       Child Loop BB5_43 Depth 3
                                        ;         Child Loop BB5_67 Depth 4
                                        ;         Child Loop BB5_76 Depth 4
	s_andn2_b64 vcc, exec, s[42:43]
	s_cbranch_vccnz .LBB5_40
; %bb.42:                               ;   in Loop: Header=BB5_41 Depth=2
	s_mov_b32 s25, 0
.LBB5_43:                               ;   Parent Loop BB5_7 Depth=1
                                        ;     Parent Loop BB5_41 Depth=2
                                        ; =>    This Loop Header: Depth=3
                                        ;         Child Loop BB5_67 Depth 4
                                        ;         Child Loop BB5_76 Depth 4
	s_mul_i32 s8, s25, s73
	v_add_u32_e32 v27, s8, v3
	v_cmp_gt_i32_e64 s[8:9], s24, v27
	v_mov_b32_e32 v6, s20
	s_and_saveexec_b64 s[10:11], s[8:9]
; %bb.44:                               ;   in Loop: Header=BB5_43 Depth=3
	v_lshl_add_u32 v1, v27, 2, 0
	ds_read_b32 v6, v1
; %bb.45:                               ;   in Loop: Header=BB5_43 Depth=3
	s_or_b64 exec, exec, s[10:11]
	v_mov_b32_e32 v1, s20
	v_lshl_add_u32 v26, v27, 2, s77
	s_and_saveexec_b64 s[10:11], s[8:9]
; %bb.46:                               ;   in Loop: Header=BB5_43 Depth=3
	ds_read_b32 v1, v26
; %bb.47:                               ;   in Loop: Header=BB5_43 Depth=3
	s_or_b64 exec, exec, s[10:11]
	s_waitcnt lgkmcnt(0)
	v_cmp_gt_i32_e64 s[10:11], s20, v6
	s_and_b64 s[14:15], s[0:1], s[10:11]
	v_cmp_gt_i32_e64 s[12:13], s20, v1
	s_and_b64 s[48:49], s[14:15], s[12:13]
	s_and_saveexec_b64 s[50:51], s[48:49]
	s_cbranch_execz .LBB5_63
; %bb.48:                               ;   in Loop: Header=BB5_43 Depth=3
	v_mul_lo_u32 v8, v1, s20
	v_mov_b32_e32 v7, s75
	v_mov_b32_e32 v25, 1.0
	v_add_u32_e32 v28, v8, v6
	v_ashrrev_i32_e32 v29, 31, v28
	v_lshlrev_b64 v[28:29], 2, v[28:29]
	v_add_co_u32_e32 v28, vcc, s74, v28
	v_addc_co_u32_e32 v29, vcc, v7, v29, vcc
	global_load_dword v7, v[28:29], off
	v_mov_b32_e32 v28, 0
	s_waitcnt vmcnt(0)
	v_mul_f32_e32 v9, v7, v7
	v_cmp_nlt_f32_e32 vcc, v9, v16
	s_and_saveexec_b64 s[52:53], vcc
	s_cbranch_execz .LBB5_62
; %bb.49:                               ;   in Loop: Header=BB5_43 Depth=3
	v_mul_lo_u32 v28, v6, s81
	v_add_u32_e32 v8, v8, v1
	v_ashrrev_i32_e32 v9, 31, v8
	v_lshlrev_b64 v[8:9], 2, v[8:9]
	v_ashrrev_i32_e32 v29, 31, v28
	v_mov_b32_e32 v25, s75
	v_add_co_u32_e32 v8, vcc, s74, v8
	v_lshlrev_b64 v[28:29], 2, v[28:29]
	v_addc_co_u32_e32 v9, vcc, v25, v9, vcc
	v_add_co_u32_e32 v28, vcc, s74, v28
	v_addc_co_u32_e32 v29, vcc, v25, v29, vcc
	global_load_dword v9, v[8:9], off
	s_nop 0
	global_load_dword v25, v[28:29], off
	v_add_f32_e64 v8, |v7|, |v7|
	s_waitcnt vmcnt(0)
	v_sub_f32_e32 v9, v9, v25
	v_max_f32_e64 v25, |v9|, |v8|
	v_cvt_f64_f32_e32 v[28:29], v25
	v_cmp_ngt_f32_e32 vcc, 0, v9
	v_frexp_exp_i32_f64_e32 v28, v[28:29]
	v_sub_u32_e32 v29, 0, v28
	v_ldexp_f32 v30, |v9|, v29
	v_ldexp_f32 v29, |v8|, v29
	v_mul_f32_e32 v29, v29, v29
	v_fmac_f32_e32 v29, v30, v30
	v_sqrt_f32_e32 v30, v29
                                        ; implicit-def: $vgpr29
	s_and_saveexec_b64 s[14:15], vcc
	s_xor_b64 s[14:15], exec, s[14:15]
; %bb.50:                               ;   in Loop: Header=BB5_43 Depth=3
	v_ldexp_f32 v28, v30, v28
	v_cmp_neq_f32_e32 vcc, s70, v25
	v_cndmask_b32_e32 v29, v20, v28, vcc
                                        ; implicit-def: $vgpr30
                                        ; implicit-def: $vgpr28
                                        ; implicit-def: $vgpr25
; %bb.51:                               ;   in Loop: Header=BB5_43 Depth=3
	s_andn2_saveexec_b64 s[14:15], s[14:15]
; %bb.52:                               ;   in Loop: Header=BB5_43 Depth=3
	v_ldexp_f32 v28, -v30, v28
	v_cmp_neq_f32_e32 vcc, s70, v25
	v_cndmask_b32_e32 v29, v21, v28, vcc
; %bb.53:                               ;   in Loop: Header=BB5_43 Depth=3
	s_or_b64 exec, exec, s[14:15]
	v_mov_b32_e32 v28, 0
	v_cmp_neq_f32_e32 vcc, 0, v8
	v_mov_b32_e32 v25, 1.0
	s_and_saveexec_b64 s[54:55], vcc
	s_cbranch_execz .LBB5_61
; %bb.54:                               ;   in Loop: Header=BB5_43 Depth=3
	v_add_f32_e32 v9, v9, v29
	v_mov_b32_e32 v25, 0
	v_cmp_neq_f32_e32 vcc, 0, v9
	v_mov_b32_e32 v28, 1.0
	s_and_saveexec_b64 s[56:57], vcc
	s_cbranch_execz .LBB5_60
; %bb.55:                               ;   in Loop: Header=BB5_43 Depth=3
	v_cmp_ngt_f32_e64 s[14:15], |v8|, |v9|
                                        ; implicit-def: $vgpr28
                                        ; implicit-def: $vgpr25
	s_and_saveexec_b64 s[58:59], s[14:15]
	s_xor_b64 s[58:59], exec, s[58:59]
	s_cbranch_execz .LBB5_57
; %bb.56:                               ;   in Loop: Header=BB5_43 Depth=3
	v_div_scale_f32 v25, s[14:15], v9, v9, -v8
	v_div_scale_f32 v28, vcc, -v8, v9, -v8
	v_rcp_f32_e32 v29, v25
	v_fma_f32 v30, -v25, v29, 1.0
	v_fmac_f32_e32 v29, v30, v29
	v_mul_f32_e32 v30, v28, v29
	v_fma_f32 v31, -v25, v30, v28
	v_fmac_f32_e32 v30, v31, v29
	v_fma_f32 v25, -v25, v30, v28
	v_div_fmas_f32 v25, v25, v29, v30
	v_div_fixup_f32 v8, v25, v9, -v8
	v_fma_f32 v9, v8, v8, 1.0
	v_mul_f32_e32 v25, 0x4f800000, v9
	v_cmp_gt_f32_e32 vcc, s71, v9
	v_cndmask_b32_e32 v9, v9, v25, vcc
	v_sqrt_f32_e32 v25, v9
	v_add_u32_e32 v28, -1, v25
	v_add_u32_e32 v29, 1, v25
	v_fma_f32 v30, -v28, v25, v9
	v_fma_f32 v31, -v29, v25, v9
	v_cmp_ge_f32_e64 s[14:15], 0, v30
	v_cndmask_b32_e64 v25, v25, v28, s[14:15]
	v_cmp_lt_f32_e64 s[14:15], 0, v31
	v_cndmask_b32_e64 v25, v25, v29, s[14:15]
	v_mul_f32_e32 v28, 0x37800000, v25
	v_cndmask_b32_e32 v25, v25, v28, vcc
	v_cmp_class_f32_e32 vcc, v9, v19
	v_cndmask_b32_e32 v9, v25, v9, vcc
	v_div_scale_f32 v25, s[14:15], v9, v9, 1.0
	v_div_scale_f32 v28, vcc, 1.0, v9, 1.0
	v_rcp_f32_e32 v29, v25
	v_fma_f32 v30, -v25, v29, 1.0
	v_fmac_f32_e32 v29, v30, v29
	v_mul_f32_e32 v30, v28, v29
	v_fma_f32 v31, -v25, v30, v28
	v_fmac_f32_e32 v30, v31, v29
	v_fma_f32 v25, -v25, v30, v28
	v_div_fmas_f32 v25, v25, v29, v30
	v_div_fixup_f32 v25, v25, v9, 1.0
	v_mul_f32_e32 v28, v8, v25
                                        ; implicit-def: $vgpr8
                                        ; implicit-def: $vgpr9
.LBB5_57:                               ;   in Loop: Header=BB5_43 Depth=3
	s_andn2_saveexec_b64 s[58:59], s[58:59]
	s_cbranch_execz .LBB5_59
; %bb.58:                               ;   in Loop: Header=BB5_43 Depth=3
	v_div_scale_f32 v25, s[14:15], v8, v8, -v9
	v_div_scale_f32 v28, vcc, -v9, v8, -v9
	v_rcp_f32_e32 v29, v25
	v_fma_f32 v30, -v25, v29, 1.0
	v_fmac_f32_e32 v29, v30, v29
	v_mul_f32_e32 v30, v28, v29
	v_fma_f32 v31, -v25, v30, v28
	v_fmac_f32_e32 v30, v31, v29
	v_fma_f32 v25, -v25, v30, v28
	v_div_fmas_f32 v25, v25, v29, v30
	v_div_fixup_f32 v8, v25, v8, -v9
	v_fma_f32 v9, v8, v8, 1.0
	v_mul_f32_e32 v25, 0x4f800000, v9
	v_cmp_gt_f32_e32 vcc, s71, v9
	v_cndmask_b32_e32 v9, v9, v25, vcc
	v_sqrt_f32_e32 v25, v9
	v_add_u32_e32 v28, -1, v25
	v_add_u32_e32 v29, 1, v25
	v_fma_f32 v30, -v28, v25, v9
	v_fma_f32 v31, -v29, v25, v9
	v_cmp_ge_f32_e64 s[14:15], 0, v30
	v_cndmask_b32_e64 v25, v25, v28, s[14:15]
	v_cmp_lt_f32_e64 s[14:15], 0, v31
	v_cndmask_b32_e64 v25, v25, v29, s[14:15]
	v_mul_f32_e32 v28, 0x37800000, v25
	v_cndmask_b32_e32 v25, v25, v28, vcc
	v_cmp_class_f32_e32 vcc, v9, v19
	v_cndmask_b32_e32 v9, v25, v9, vcc
	v_div_scale_f32 v25, s[14:15], v9, v9, 1.0
	v_div_scale_f32 v28, vcc, 1.0, v9, 1.0
	v_rcp_f32_e32 v29, v25
	v_fma_f32 v30, -v25, v29, 1.0
	v_fmac_f32_e32 v29, v30, v29
	v_mul_f32_e32 v30, v28, v29
	v_fma_f32 v31, -v25, v30, v28
	v_fmac_f32_e32 v30, v31, v29
	v_fma_f32 v25, -v25, v30, v28
	v_div_fmas_f32 v25, v25, v29, v30
	v_div_fixup_f32 v28, v25, v9, 1.0
	v_mul_f32_e32 v25, v8, v28
.LBB5_59:                               ;   in Loop: Header=BB5_43 Depth=3
	s_or_b64 exec, exec, s[58:59]
.LBB5_60:                               ;   in Loop: Header=BB5_43 Depth=3
	s_or_b64 exec, exec, s[56:57]
.LBB5_61:                               ;   in Loop: Header=BB5_43 Depth=3
	s_or_b64 exec, exec, s[54:55]
	v_mul_f32_e32 v8, v7, v28
	v_and_b32_e32 v9, 0x7fffffff, v7
	v_div_scale_f32 v28, s[14:15], v9, v9, v8
	v_div_scale_f32 v9, vcc, v8, v9, v8
	v_rcp_f32_e32 v29, v28
	v_fma_f32 v30, -v28, v29, 1.0
	v_fmac_f32_e32 v29, v30, v29
	v_mul_f32_e32 v30, v9, v29
	v_fma_f32 v31, -v28, v30, v9
	v_fmac_f32_e32 v30, v31, v29
	v_fma_f32 v9, -v28, v30, v9
	v_div_fmas_f32 v9, v9, v29, v30
	v_div_fixup_f32 v28, v9, |v7|, v8
.LBB5_62:                               ;   in Loop: Header=BB5_43 Depth=3
	s_or_b64 exec, exec, s[52:53]
	ds_write_b32 v12, v25
	ds_write_b32 v13, v28
.LBB5_63:                               ;   in Loop: Header=BB5_43 Depth=3
	s_or_b64 exec, exec, s[50:51]
	s_and_b64 s[10:11], s[10:11], s[12:13]
	s_mov_b64 s[14:15], 0
	s_waitcnt lgkmcnt(0)
	s_barrier
	s_and_saveexec_b64 s[12:13], s[10:11]
	s_cbranch_execz .LBB5_73
; %bb.64:                               ;   in Loop: Header=BB5_43 Depth=3
	ds_read_b32 v25, v12
	ds_read_b32 v28, v13
	s_mov_b64 s[10:11], 0
	s_and_saveexec_b64 s[14:15], s[2:3]
	s_cbranch_execz .LBB5_72
; %bb.65:                               ;   in Loop: Header=BB5_43 Depth=3
	v_mul_lo_u32 v29, v6, s20
	v_mul_lo_u32 v30, v1, s20
	;; [unrolled: 1-line block ×4, first 2 shown]
	s_mov_b64 s[50:51], 0
	v_mov_b32_e32 v33, v14
	v_mov_b32_e32 v34, v22
	s_branch .LBB5_67
.LBB5_66:                               ;   in Loop: Header=BB5_67 Depth=4
	s_or_b64 exec, exec, s[10:11]
	v_add_u32_e32 v34, s76, v34
	v_cmp_le_i32_e32 vcc, s24, v34
	s_or_b64 s[50:51], vcc, s[50:51]
	v_add_u32_e32 v33, s82, v33
	s_andn2_b64 exec, exec, s[50:51]
	s_cbranch_execz .LBB5_71
.LBB5_67:                               ;   Parent Loop BB5_7 Depth=1
                                        ;     Parent Loop BB5_41 Depth=2
                                        ;       Parent Loop BB5_43 Depth=3
                                        ; =>      This Inner Loop Header: Depth=4
	v_add_u32_e32 v7, v29, v33
	v_ashrrev_i32_e32 v8, 31, v7
	v_lshlrev_b64 v[7:8], 2, v[7:8]
	v_mov_b32_e32 v9, s75
	v_add_co_u32_e32 v7, vcc, s74, v7
	v_addc_co_u32_e32 v8, vcc, v9, v8, vcc
	v_add_u32_e32 v9, v30, v33
	v_ashrrev_i32_e32 v10, 31, v9
	v_lshlrev_b64 v[9:10], 2, v[9:10]
	v_mov_b32_e32 v35, s75
	v_add_co_u32_e32 v9, vcc, s74, v9
	v_addc_co_u32_e32 v10, vcc, v35, v10, vcc
	global_load_dword v35, v[9:10], off
	global_load_dword v36, v[7:8], off
	v_add_u32_e32 v37, 1, v33
	v_cmp_gt_i32_e32 vcc, s20, v37
	s_waitcnt vmcnt(1) lgkmcnt(0)
	v_mul_f32_e32 v38, v28, v35
	s_waitcnt vmcnt(0)
	v_mul_f32_e32 v39, v28, v36
	v_fmac_f32_e32 v38, v25, v36
	v_fma_f32 v35, v25, v35, -v39
	global_store_dword v[7:8], v38, off
	global_store_dword v[9:10], v35, off
	s_and_saveexec_b64 s[10:11], vcc
	s_cbranch_execz .LBB5_69
; %bb.68:                               ;   in Loop: Header=BB5_67 Depth=4
	global_load_dword v35, v[9:10], off offset:4
	global_load_dword v36, v[7:8], off offset:4
	s_waitcnt vmcnt(1)
	v_mul_f32_e32 v37, v28, v35
	s_waitcnt vmcnt(0)
	v_mul_f32_e32 v38, v28, v36
	v_fmac_f32_e32 v37, v25, v36
	v_fma_f32 v35, v25, v35, -v38
	global_store_dword v[7:8], v37, off offset:4
	global_store_dword v[9:10], v35, off offset:4
.LBB5_69:                               ;   in Loop: Header=BB5_67 Depth=4
	s_or_b64 exec, exec, s[10:11]
	v_add_u32_e32 v7, v31, v33
	v_ashrrev_i32_e32 v8, 31, v7
	v_lshlrev_b64 v[7:8], 2, v[7:8]
	v_mov_b32_e32 v9, s72
	v_add_co_u32_e64 v7, s[10:11], s35, v7
	v_addc_co_u32_e64 v8, s[10:11], v9, v8, s[10:11]
	v_add_u32_e32 v9, v32, v33
	v_ashrrev_i32_e32 v10, 31, v9
	v_lshlrev_b64 v[9:10], 2, v[9:10]
	v_mov_b32_e32 v35, s72
	v_add_co_u32_e64 v9, s[10:11], s35, v9
	v_addc_co_u32_e64 v10, s[10:11], v35, v10, s[10:11]
	global_load_dword v35, v[9:10], off
	global_load_dword v36, v[7:8], off
	s_waitcnt vmcnt(1)
	v_mul_f32_e32 v37, v28, v35
	s_waitcnt vmcnt(0)
	v_mul_f32_e32 v38, v28, v36
	v_fmac_f32_e32 v37, v25, v36
	v_fma_f32 v35, v25, v35, -v38
	global_store_dword v[7:8], v37, off
	global_store_dword v[9:10], v35, off
	s_and_saveexec_b64 s[10:11], vcc
	s_cbranch_execz .LBB5_66
; %bb.70:                               ;   in Loop: Header=BB5_67 Depth=4
	global_load_dword v35, v[9:10], off offset:4
	global_load_dword v36, v[7:8], off offset:4
	s_waitcnt vmcnt(1)
	v_mul_f32_e32 v37, v28, v35
	s_waitcnt vmcnt(0)
	v_mul_f32_e32 v38, v28, v36
	v_fmac_f32_e32 v37, v25, v36
	v_fma_f32 v35, v25, v35, -v38
	global_store_dword v[7:8], v37, off offset:4
	global_store_dword v[9:10], v35, off offset:4
	s_branch .LBB5_66
.LBB5_71:                               ;   in Loop: Header=BB5_43 Depth=3
	s_or_b64 exec, exec, s[50:51]
	s_mov_b64 s[10:11], exec
.LBB5_72:                               ;   in Loop: Header=BB5_43 Depth=3
	s_or_b64 exec, exec, s[14:15]
	s_and_b64 s[14:15], s[10:11], exec
	s_waitcnt lgkmcnt(0)
	v_mov_b32_e32 v10, v28
.LBB5_73:                               ;   in Loop: Header=BB5_43 Depth=3
	s_or_b64 exec, exec, s[12:13]
	s_waitcnt vmcnt(0)
	s_barrier
	s_and_saveexec_b64 s[10:11], s[14:15]
	s_cbranch_execz .LBB5_78
; %bb.74:                               ;   in Loop: Header=BB5_43 Depth=3
	v_add_u32_e32 v7, v23, v6
	v_add_u32_e32 v8, v23, v1
	v_add_u32_e32 v9, v24, v1
	v_add_u32_e32 v29, v24, v6
	s_mov_b32 s27, 0
	s_mov_b64 s[12:13], 0
	v_mov_b32_e32 v30, v15
	v_mov_b32_e32 v31, v22
	s_branch .LBB5_76
.LBB5_75:                               ;   in Loop: Header=BB5_76 Depth=4
	s_or_b64 exec, exec, s[14:15]
	v_add_u32_e32 v31, s76, v31
	s_add_i32 s27, s27, s83
	v_cmp_le_i32_e32 vcc, s24, v31
	s_or_b64 s[12:13], vcc, s[12:13]
	v_add_u32_e32 v30, s82, v30
	s_andn2_b64 exec, exec, s[12:13]
	s_cbranch_execz .LBB5_78
.LBB5_76:                               ;   Parent Loop BB5_7 Depth=1
                                        ;     Parent Loop BB5_41 Depth=2
                                        ;       Parent Loop BB5_43 Depth=3
                                        ; =>      This Inner Loop Header: Depth=4
	v_add_u32_e32 v32, s27, v29
	v_ashrrev_i32_e32 v33, 31, v32
	v_lshlrev_b64 v[32:33], 2, v[32:33]
	v_mov_b32_e32 v34, s75
	v_add_co_u32_e32 v32, vcc, s74, v32
	v_addc_co_u32_e32 v33, vcc, v34, v33, vcc
	v_add_u32_e32 v34, s27, v9
	v_ashrrev_i32_e32 v35, 31, v34
	v_lshlrev_b64 v[34:35], 2, v[34:35]
	v_mov_b32_e32 v36, s75
	v_add_co_u32_e32 v34, vcc, s74, v34
	v_addc_co_u32_e32 v35, vcc, v36, v35, vcc
	global_load_dword v36, v[34:35], off
	global_load_dword v37, v[32:33], off
	v_cmp_gt_i32_e32 vcc, s20, v30
	s_waitcnt vmcnt(1)
	v_mul_f32_e32 v38, v28, v36
	s_waitcnt vmcnt(0)
	v_mul_f32_e32 v39, v10, v37
	v_fmac_f32_e32 v38, v25, v37
	v_fma_f32 v36, v25, v36, -v39
	global_store_dword v[32:33], v38, off
	global_store_dword v[34:35], v36, off
	s_and_saveexec_b64 s[14:15], vcc
	s_cbranch_execz .LBB5_75
; %bb.77:                               ;   in Loop: Header=BB5_76 Depth=4
	v_add_u32_e32 v32, s27, v7
	v_ashrrev_i32_e32 v33, 31, v32
	v_lshlrev_b64 v[32:33], 2, v[32:33]
	v_mov_b32_e32 v34, s75
	v_add_co_u32_e32 v32, vcc, s74, v32
	v_addc_co_u32_e32 v33, vcc, v34, v33, vcc
	v_add_u32_e32 v34, s27, v8
	v_ashrrev_i32_e32 v35, 31, v34
	v_lshlrev_b64 v[34:35], 2, v[34:35]
	v_mov_b32_e32 v36, s75
	v_add_co_u32_e32 v34, vcc, s74, v34
	v_addc_co_u32_e32 v35, vcc, v36, v35, vcc
	global_load_dword v36, v[34:35], off
	global_load_dword v37, v[32:33], off
	s_waitcnt vmcnt(1)
	v_mul_f32_e32 v38, v28, v36
	s_waitcnt vmcnt(0)
	v_mul_f32_e32 v39, v10, v37
	v_fmac_f32_e32 v38, v25, v37
	v_fma_f32 v36, v25, v36, -v39
	global_store_dword v[32:33], v38, off
	global_store_dword v[34:35], v36, off
	s_branch .LBB5_75
.LBB5_78:                               ;   in Loop: Header=BB5_43 Depth=3
	s_or_b64 exec, exec, s[10:11]
	s_waitcnt vmcnt(0)
	s_barrier
	s_and_saveexec_b64 s[10:11], s[48:49]
	s_cbranch_execz .LBB5_80
; %bb.79:                               ;   in Loop: Header=BB5_43 Depth=3
	v_mad_u64_u32 v[7:8], s[12:13], v1, s20, v[6:7]
	v_mad_u64_u32 v[29:30], s[12:13], v6, s20, v[1:2]
	v_ashrrev_i32_e32 v8, 31, v7
	v_lshlrev_b64 v[7:8], 2, v[7:8]
	v_mov_b32_e32 v9, s75
	v_add_co_u32_e32 v7, vcc, s74, v7
	v_addc_co_u32_e32 v8, vcc, v9, v8, vcc
	v_ashrrev_i32_e32 v30, 31, v29
	global_store_dword v[7:8], v2, off
	v_lshlrev_b64 v[7:8], 2, v[29:30]
	v_add_co_u32_e32 v7, vcc, s74, v7
	v_addc_co_u32_e32 v8, vcc, v9, v8, vcc
	global_store_dword v[7:8], v2, off
.LBB5_80:                               ;   in Loop: Header=BB5_43 Depth=3
	s_or_b64 exec, exec, s[10:11]
	s_and_b64 s[8:9], s[0:1], s[8:9]
	s_waitcnt vmcnt(0)
	s_barrier
	s_and_saveexec_b64 s[10:11], s[8:9]
	s_cbranch_execz .LBB5_92
; %bb.81:                               ;   in Loop: Header=BB5_43 Depth=3
	v_cmp_lt_i32_e32 vcc, 0, v6
	s_and_saveexec_b64 s[12:13], vcc
	s_cbranch_execz .LBB5_87
; %bb.82:                               ;   in Loop: Header=BB5_43 Depth=3
	v_cmp_ne_u32_e32 vcc, 2, v6
	v_cmp_ne_u32_e64 s[8:9], s80, v6
	s_and_b64 s[8:9], vcc, s[8:9]
                                        ; implicit-def: $vgpr7
	s_and_saveexec_b64 s[14:15], s[8:9]
	s_xor_b64 s[8:9], exec, s[14:15]
; %bb.83:                               ;   in Loop: Header=BB5_43 Depth=3
	v_and_b32_e32 v7, 1, v6
	v_cmp_eq_u32_e32 vcc, 0, v7
	v_cndmask_b32_e64 v7, 2, -2, vcc
	v_add_u32_e32 v7, v7, v6
                                        ; implicit-def: $vgpr6
; %bb.84:                               ;   in Loop: Header=BB5_43 Depth=3
	s_andn2_saveexec_b64 s[8:9], s[8:9]
; %bb.85:                               ;   in Loop: Header=BB5_43 Depth=3
	v_add_u32_e32 v7, -1, v6
; %bb.86:                               ;   in Loop: Header=BB5_43 Depth=3
	s_or_b64 exec, exec, s[8:9]
	v_lshl_add_u32 v6, v27, 2, 0
	ds_write_b32 v6, v7
.LBB5_87:                               ;   in Loop: Header=BB5_43 Depth=3
	s_or_b64 exec, exec, s[12:13]
	v_cmp_ne_u32_e32 vcc, 2, v1
	v_cmp_ne_u32_e64 s[8:9], s80, v1
	s_and_b64 s[8:9], vcc, s[8:9]
                                        ; implicit-def: $vgpr6
	s_and_saveexec_b64 s[12:13], s[8:9]
	s_xor_b64 s[8:9], exec, s[12:13]
; %bb.88:                               ;   in Loop: Header=BB5_43 Depth=3
	v_and_b32_e32 v6, 1, v1
	v_cmp_eq_u32_e32 vcc, 0, v6
	v_cndmask_b32_e64 v6, 2, -2, vcc
	v_add_u32_e32 v6, v6, v1
                                        ; implicit-def: $vgpr1
; %bb.89:                               ;   in Loop: Header=BB5_43 Depth=3
	s_andn2_saveexec_b64 s[8:9], s[8:9]
; %bb.90:                               ;   in Loop: Header=BB5_43 Depth=3
	v_add_u32_e32 v6, -1, v1
; %bb.91:                               ;   in Loop: Header=BB5_43 Depth=3
	s_or_b64 exec, exec, s[8:9]
	ds_write_b32 v26, v6
.LBB5_92:                               ;   in Loop: Header=BB5_43 Depth=3
	s_or_b64 exec, exec, s[10:11]
	s_add_i32 s8, s25, 1
	s_cmp_eq_u32 s25, s79
	s_waitcnt lgkmcnt(0)
	s_barrier
	s_cbranch_scc1 .LBB5_40
; %bb.93:                               ;   in Loop: Header=BB5_43 Depth=3
	s_mov_b32 s25, s8
	s_branch .LBB5_43
.LBB5_94:                               ;   Parent Loop BB5_7 Depth=1
                                        ; =>  This Loop Header: Depth=2
                                        ;       Child Loop BB5_98 Depth 3
                                        ;         Child Loop BB5_100 Depth 4
                                        ;       Child Loop BB5_106 Depth 3
	s_and_saveexec_b64 s[8:9], s[0:1]
	s_cbranch_execz .LBB5_104
; %bb.95:                               ;   in Loop: Header=BB5_94 Depth=2
	v_mov_b32_e32 v1, 0
	s_and_saveexec_b64 s[10:11], s[4:5]
	s_cbranch_execz .LBB5_103
; %bb.96:                               ;   in Loop: Header=BB5_94 Depth=2
	v_mov_b32_e32 v7, v5
	v_mov_b32_e32 v1, 0
	s_mov_b64 s[12:13], 0
	v_mov_b32_e32 v6, v4
	v_mov_b32_e32 v26, v3
	s_branch .LBB5_98
.LBB5_97:                               ;   in Loop: Header=BB5_98 Depth=3
	s_or_b64 exec, exec, s[14:15]
	v_add_u32_e32 v26, s73, v26
	v_cmp_le_i32_e32 vcc, s20, v26
	v_mov_b32_e32 v8, s45
	s_or_b64 s[12:13], vcc, s[12:13]
	v_add_co_u32_e32 v6, vcc, s44, v6
	v_addc_co_u32_e32 v7, vcc, v7, v8, vcc
	s_andn2_b64 exec, exec, s[12:13]
	s_cbranch_execz .LBB5_102
.LBB5_98:                               ;   Parent Loop BB5_7 Depth=1
                                        ;     Parent Loop BB5_94 Depth=2
                                        ; =>    This Loop Header: Depth=3
                                        ;         Child Loop BB5_100 Depth 4
	v_cmp_lt_i32_e32 vcc, 0, v26
	s_and_saveexec_b64 s[14:15], vcc
	s_cbranch_execz .LBB5_97
; %bb.99:                               ;   in Loop: Header=BB5_98 Depth=3
	v_mov_b32_e32 v9, v7
	s_mov_b32 s21, 0
	s_mov_b64 s[48:49], 0
	v_mov_b32_e32 v8, v6
.LBB5_100:                              ;   Parent Loop BB5_7 Depth=1
                                        ;     Parent Loop BB5_94 Depth=2
                                        ;       Parent Loop BB5_98 Depth=3
                                        ; =>      This Inner Loop Header: Depth=4
	global_load_dword v27, v[8:9], off
	v_mov_b32_e32 v29, s47
	v_add_co_u32_e32 v8, vcc, s46, v8
	s_add_i32 s21, s21, 1
	v_addc_co_u32_e32 v9, vcc, v9, v29, vcc
	v_cmp_eq_u32_e32 vcc, s21, v26
	s_or_b64 s[48:49], vcc, s[48:49]
	s_waitcnt vmcnt(0)
	v_mul_f32_e32 v27, v27, v27
	v_fmac_f32_e32 v1, 2.0, v27
	s_andn2_b64 exec, exec, s[48:49]
	s_cbranch_execnz .LBB5_100
; %bb.101:                              ;   in Loop: Header=BB5_98 Depth=3
	s_or_b64 exec, exec, s[48:49]
	s_branch .LBB5_97
.LBB5_102:                              ;   in Loop: Header=BB5_94 Depth=2
	s_or_b64 exec, exec, s[12:13]
.LBB5_103:                              ;   in Loop: Header=BB5_94 Depth=2
	s_or_b64 exec, exec, s[10:11]
	ds_write_b32 v12, v1
.LBB5_104:                              ;   in Loop: Header=BB5_94 Depth=2
	s_or_b64 exec, exec, s[8:9]
	s_andn2_b64 vcc, exec, s[38:39]
	v_mov_b32_e32 v1, 0
	s_waitcnt lgkmcnt(0)
	s_barrier
	s_cbranch_vccnz .LBB5_107
; %bb.105:                              ;   in Loop: Header=BB5_94 Depth=2
	s_mov_b32 s8, s73
	s_mov_b32 s9, s66
.LBB5_106:                              ;   Parent Loop BB5_7 Depth=1
                                        ;     Parent Loop BB5_94 Depth=2
                                        ; =>    This Inner Loop Header: Depth=3
	v_mov_b32_e32 v6, s9
	ds_read_b32 v6, v6
	s_add_i32 s9, s9, 4
	s_add_i32 s8, s8, -1
	s_cmp_lg_u32 s8, 0
	s_waitcnt lgkmcnt(0)
	v_add_f32_e32 v1, v1, v6
	s_cbranch_scc1 .LBB5_106
.LBB5_107:                              ;   in Loop: Header=BB5_94 Depth=2
	s_add_i32 s10, s78, 1
	s_cmp_lt_u32 s78, 19
	s_cselect_b64 s[8:9], -1, 0
	v_cmp_gt_f32_e32 vcc, v1, v11
	s_and_b64 s[8:9], s[8:9], vcc
	s_and_b64 vcc, exec, s[8:9]
	s_cbranch_vccz .LBB5_109
; %bb.108:                              ;   in Loop: Header=BB5_94 Depth=2
	s_mov_b32 s78, s10
	s_andn2_b64 vcc, exec, s[40:41]
	s_cbranch_vccz .LBB5_39
	s_branch .LBB5_94
.LBB5_109:                              ;   in Loop: Header=BB5_7 Depth=1
	s_and_saveexec_b64 s[2:3], s[0:1]
	s_cbranch_execz .LBB5_5
; %bb.110:                              ;   in Loop: Header=BB5_7 Depth=1
	v_cmp_eq_u32_e32 vcc, 0, v3
	s_and_saveexec_b64 s[4:5], vcc
	s_cbranch_execz .LBB5_112
; %bb.111:                              ;   in Loop: Header=BB5_7 Depth=1
	v_mul_f32_e32 v4, 0x4f800000, v1
	v_cmp_gt_f32_e32 vcc, s71, v1
	v_cndmask_b32_e32 v1, v1, v4, vcc
	v_sqrt_f32_e32 v4, v1
	s_cmp_gt_u32 s10, 20
	s_cselect_b64 s[0:1], -1, 0
	v_cndmask_b32_e64 v6, 0, 1, s[0:1]
	v_add_u32_e32 v5, -1, v4
	v_fma_f32 v7, -v5, v4, v1
	v_cmp_ge_f32_e64 s[0:1], 0, v7
	v_add_u32_e32 v7, 1, v4
	v_cndmask_b32_e64 v5, v4, v5, s[0:1]
	v_fma_f32 v4, -v7, v4, v1
	v_cmp_lt_f32_e64 s[0:1], 0, v4
	v_cndmask_b32_e64 v4, v5, v7, s[0:1]
	v_mul_f32_e32 v5, 0x37800000, v4
	s_min_u32 s8, s10, 20
	v_cndmask_b32_e32 v4, v4, v5, vcc
	v_cmp_class_f32_e32 vcc, v1, v19
	v_cndmask_b32_e32 v4, v4, v1, vcc
	v_mov_b32_e32 v5, s8
	global_store_dwordx2 v2, v[4:5], s[16:17]
	global_store_dword v2, v6, s[18:19]
.LBB5_112:                              ;   in Loop: Header=BB5_7 Depth=1
	s_or_b64 exec, exec, s[4:5]
	v_cmp_gt_i32_e32 vcc, s20, v3
	s_and_b64 exec, exec, vcc
	s_cbranch_execz .LBB5_5
; %bb.113:                              ;   in Loop: Header=BB5_7 Depth=1
	s_add_i32 s8, s20, 1
	v_ashrrev_i32_e32 v4, 31, v3
	s_add_u32 s0, s60, s22
	v_lshlrev_b64 v[4:5], 2, v[3:4]
	s_addc_u32 s1, s61, s23
	s_ashr_i32 s27, s26, 31
	v_mov_b32_e32 v6, s26
	s_ashr_i32 s25, s24, 31
	v_mov_b32_e32 v7, s27
	v_mov_b32_e32 v1, s1
	v_cmp_lt_i64_e32 vcc, s[24:25], v[6:7]
	v_add_co_u32_e64 v4, s[0:1], s0, v4
	v_mad_u64_u32 v[6:7], s[4:5], v3, s20, v[3:4]
	v_addc_co_u32_e64 v5, s[0:1], v1, v5, s[0:1]
	s_and_b64 s[0:1], vcc, exec
	s_cselect_b32 s1, s25, s27
	s_cselect_b32 s0, s24, s26
	s_lshl_b64 s[0:1], s[0:1], 2
	s_mul_i32 s8, s73, s8
	s_mov_b64 s[4:5], 0
.LBB5_114:                              ;   Parent Loop BB5_7 Depth=1
                                        ; =>  This Inner Loop Header: Depth=2
	v_ashrrev_i32_e32 v7, 31, v6
	v_lshlrev_b64 v[7:8], 2, v[6:7]
	v_mov_b32_e32 v1, s75
	v_add_co_u32_e32 v7, vcc, s74, v7
	v_addc_co_u32_e32 v8, vcc, v1, v8, vcc
	global_load_dword v1, v[7:8], off
	v_add_u32_e32 v3, s73, v3
	v_cmp_le_i32_e32 vcc, s20, v3
	v_mov_b32_e32 v7, s1
	s_or_b64 s[4:5], vcc, s[4:5]
	v_add_u32_e32 v6, s8, v6
	s_waitcnt vmcnt(0)
	global_store_dword v[4:5], v1, off
	v_add_co_u32_e32 v4, vcc, s0, v4
	v_addc_co_u32_e32 v5, vcc, v5, v7, vcc
	s_andn2_b64 exec, exec, s[4:5]
	s_cbranch_execnz .LBB5_114
	s_branch .LBB5_5
.LBB5_115:
	s_endpgm
.LBB5_116:
                                        ; implicit-def: $sgpr28_sgpr29
	s_branch .LBB5_2
	.section	.rodata,"a",@progbits
	.p2align	6, 0x0
	.amdhsa_kernel _ZN9rocsolver6v33100L19stedcj_solve_kernelIfEEviPT_lS3_lS3_iilPiS3_S4_S2_S2_S2_
		.amdhsa_group_segment_fixed_size 0
		.amdhsa_private_segment_fixed_size 0
		.amdhsa_kernarg_size 100
		.amdhsa_user_sgpr_count 6
		.amdhsa_user_sgpr_private_segment_buffer 1
		.amdhsa_user_sgpr_dispatch_ptr 0
		.amdhsa_user_sgpr_queue_ptr 0
		.amdhsa_user_sgpr_kernarg_segment_ptr 1
		.amdhsa_user_sgpr_dispatch_id 0
		.amdhsa_user_sgpr_flat_scratch_init 0
		.amdhsa_user_sgpr_private_segment_size 0
		.amdhsa_uses_dynamic_stack 0
		.amdhsa_system_sgpr_private_segment_wavefront_offset 0
		.amdhsa_system_sgpr_workgroup_id_x 1
		.amdhsa_system_sgpr_workgroup_id_y 1
		.amdhsa_system_sgpr_workgroup_id_z 1
		.amdhsa_system_sgpr_workgroup_info 0
		.amdhsa_system_vgpr_workitem_id 0
		.amdhsa_next_free_vgpr 40
		.amdhsa_next_free_sgpr 84
		.amdhsa_reserve_vcc 1
		.amdhsa_reserve_flat_scratch 0
		.amdhsa_float_round_mode_32 0
		.amdhsa_float_round_mode_16_64 0
		.amdhsa_float_denorm_mode_32 3
		.amdhsa_float_denorm_mode_16_64 3
		.amdhsa_dx10_clamp 1
		.amdhsa_ieee_mode 1
		.amdhsa_fp16_overflow 0
		.amdhsa_exception_fp_ieee_invalid_op 0
		.amdhsa_exception_fp_denorm_src 0
		.amdhsa_exception_fp_ieee_div_zero 0
		.amdhsa_exception_fp_ieee_overflow 0
		.amdhsa_exception_fp_ieee_underflow 0
		.amdhsa_exception_fp_ieee_inexact 0
		.amdhsa_exception_int_div_zero 0
	.end_amdhsa_kernel
	.section	.text._ZN9rocsolver6v33100L19stedcj_solve_kernelIfEEviPT_lS3_lS3_iilPiS3_S4_S2_S2_S2_,"axG",@progbits,_ZN9rocsolver6v33100L19stedcj_solve_kernelIfEEviPT_lS3_lS3_iilPiS3_S4_S2_S2_S2_,comdat
.Lfunc_end5:
	.size	_ZN9rocsolver6v33100L19stedcj_solve_kernelIfEEviPT_lS3_lS3_iilPiS3_S4_S2_S2_S2_, .Lfunc_end5-_ZN9rocsolver6v33100L19stedcj_solve_kernelIfEEviPT_lS3_lS3_iilPiS3_S4_S2_S2_S2_
                                        ; -- End function
	.set _ZN9rocsolver6v33100L19stedcj_solve_kernelIfEEviPT_lS3_lS3_iilPiS3_S4_S2_S2_S2_.num_vgpr, 40
	.set _ZN9rocsolver6v33100L19stedcj_solve_kernelIfEEviPT_lS3_lS3_iilPiS3_S4_S2_S2_S2_.num_agpr, 0
	.set _ZN9rocsolver6v33100L19stedcj_solve_kernelIfEEviPT_lS3_lS3_iilPiS3_S4_S2_S2_S2_.numbered_sgpr, 84
	.set _ZN9rocsolver6v33100L19stedcj_solve_kernelIfEEviPT_lS3_lS3_iilPiS3_S4_S2_S2_S2_.num_named_barrier, 0
	.set _ZN9rocsolver6v33100L19stedcj_solve_kernelIfEEviPT_lS3_lS3_iilPiS3_S4_S2_S2_S2_.private_seg_size, 0
	.set _ZN9rocsolver6v33100L19stedcj_solve_kernelIfEEviPT_lS3_lS3_iilPiS3_S4_S2_S2_S2_.uses_vcc, 1
	.set _ZN9rocsolver6v33100L19stedcj_solve_kernelIfEEviPT_lS3_lS3_iilPiS3_S4_S2_S2_S2_.uses_flat_scratch, 0
	.set _ZN9rocsolver6v33100L19stedcj_solve_kernelIfEEviPT_lS3_lS3_iilPiS3_S4_S2_S2_S2_.has_dyn_sized_stack, 0
	.set _ZN9rocsolver6v33100L19stedcj_solve_kernelIfEEviPT_lS3_lS3_iilPiS3_S4_S2_S2_S2_.has_recursion, 0
	.set _ZN9rocsolver6v33100L19stedcj_solve_kernelIfEEviPT_lS3_lS3_iilPiS3_S4_S2_S2_S2_.has_indirect_call, 0
	.section	.AMDGPU.csdata,"",@progbits
; Kernel info:
; codeLenInByte = 5524
; TotalNumSgprs: 88
; NumVgprs: 40
; ScratchSize: 0
; MemoryBound: 0
; FloatMode: 240
; IeeeMode: 1
; LDSByteSize: 0 bytes/workgroup (compile time only)
; SGPRBlocks: 10
; VGPRBlocks: 9
; NumSGPRsForWavesPerEU: 88
; NumVGPRsForWavesPerEU: 40
; Occupancy: 6
; WaveLimiterHint : 1
; COMPUTE_PGM_RSRC2:SCRATCH_EN: 0
; COMPUTE_PGM_RSRC2:USER_SGPR: 6
; COMPUTE_PGM_RSRC2:TRAP_HANDLER: 0
; COMPUTE_PGM_RSRC2:TGID_X_EN: 1
; COMPUTE_PGM_RSRC2:TGID_Y_EN: 1
; COMPUTE_PGM_RSRC2:TGID_Z_EN: 1
; COMPUTE_PGM_RSRC2:TIDIG_COMP_CNT: 0
	.section	.text._ZN9rocsolver6v33100L26stedcj_mergePrepare_kernelIfEEviiPT_lS3_lS3_iilS3_S3_PiS2_,"axG",@progbits,_ZN9rocsolver6v33100L26stedcj_mergePrepare_kernelIfEEviiPT_lS3_lS3_iilS3_S3_PiS2_,comdat
	.globl	_ZN9rocsolver6v33100L26stedcj_mergePrepare_kernelIfEEviiPT_lS3_lS3_iilS3_S3_PiS2_ ; -- Begin function _ZN9rocsolver6v33100L26stedcj_mergePrepare_kernelIfEEviiPT_lS3_lS3_iilS3_S3_PiS2_
	.p2align	8
	.type	_ZN9rocsolver6v33100L26stedcj_mergePrepare_kernelIfEEviiPT_lS3_lS3_iilS3_S3_PiS2_,@function
_ZN9rocsolver6v33100L26stedcj_mergePrepare_kernelIfEEviiPT_lS3_lS3_iilS3_S3_PiS2_: ; @_ZN9rocsolver6v33100L26stedcj_mergePrepare_kernelIfEEviiPT_lS3_lS3_iilS3_S3_PiS2_
; %bb.0:
	s_load_dwordx4 s[20:23], s[4:5], 0x28
	s_load_dwordx8 s[12:19], s[4:5], 0x38
	s_mov_b32 s24, s7
	s_mov_b64 s[0:1], 0
	s_waitcnt lgkmcnt(0)
	s_cmp_lg_u64 s[20:21], 0
	s_cbranch_scc0 .LBB6_82
; %bb.1:
	s_ashr_i32 s2, s8, 31
	s_mul_hi_u32 s3, s12, s8
	s_mul_i32 s7, s12, s2
	s_add_i32 s3, s3, s7
	s_mul_i32 s7, s13, s8
	s_add_i32 s13, s3, s7
	s_mul_i32 s12, s12, s8
	s_ashr_i32 s11, s22, 31
	s_lshl_b64 s[12:13], s[12:13], 2
	s_mov_b32 s10, s22
	s_add_u32 s3, s20, s12
	s_addc_u32 s7, s21, s13
	s_lshl_b64 s[10:11], s[10:11], 2
	s_add_u32 s12, s3, s10
	s_addc_u32 s13, s7, s11
	s_andn2_b64 vcc, exec, s[0:1]
	s_cbranch_vccnz .LBB6_3
.LBB6_2:
	s_ashr_i32 s2, s8, 31
                                        ; implicit-def: $sgpr12_sgpr13
.LBB6_3:
	s_load_dwordx2 s[20:21], s[4:5], 0x0
	s_waitcnt lgkmcnt(0)
	s_mul_i32 s0, s21, 5
	s_add_i32 s0, s0, 2
	s_mul_i32 s0, s0, s8
	s_ashr_i32 s1, s0, 31
	s_lshl_b64 s[10:11], s[0:1], 2
	s_add_u32 s7, s18, s10
	s_addc_u32 s22, s19, s11
	s_ashr_i32 s35, s21, 31
	s_mov_b32 s34, s21
	s_lshl_b64 s[30:31], s[34:35], 2
	s_add_u32 s26, s7, s30
	s_addc_u32 s27, s22, s31
	s_load_dword s33, s[26:27], 0x4
	s_waitcnt lgkmcnt(0)
	s_cmp_ge_i32 s24, s33
	s_cbranch_scc1 .LBB6_81
; %bb.4:
	s_load_dwordx8 s[36:43], s[4:5], 0x8
	v_lshlrev_b32_e32 v3, 2, v0
	v_add_u32_e32 v11, 0, v3
	v_mov_b32_e32 v17, 0
	s_mov_b32 s73, 0xf800000
	s_waitcnt lgkmcnt(0)
	s_mul_i32 s1, s38, s2
	s_mul_hi_u32 s3, s38, s8
	s_mul_i32 s9, s39, s8
	s_add_i32 s1, s3, s1
	s_mul_i32 s0, s38, s8
	s_add_i32 s1, s1, s9
	s_lshl_b64 s[0:1], s[0:1], 2
	s_mul_i32 s2, s42, s2
	s_add_u32 s48, s36, s0
	s_mul_hi_u32 s0, s42, s8
	s_addc_u32 s49, s37, s1
	s_add_i32 s0, s0, s2
	s_mul_i32 s1, s43, s8
	s_add_i32 s1, s0, s1
	s_mul_i32 s0, s42, s8
	s_lshl_b64 s[0:1], s[0:1], 2
	s_add_u32 s50, s40, s0
	s_addc_u32 s51, s41, s1
	s_add_u32 s52, s26, s30
	s_addc_u32 s53, s27, s31
	;; [unrolled: 2-line block ×4, first 2 shown]
	s_lshl_b32 s2, s8, 1
	s_mul_i32 s0, s2, s21
	s_ashr_i32 s1, s0, 31
	s_lshl_b64 s[0:1], s[0:1], 2
	s_add_u32 s58, s14, s0
	s_mul_i32 s0, s21, s21
	s_mul_i32 s2, s2, s0
	s_addc_u32 s59, s15, s1
	s_ashr_i32 s3, s2, 31
	s_load_dword s8, s[4:5], 0x6c
	s_lshl_b64 s[2:3], s[2:3], 2
	s_add_u32 s2, s16, s2
	s_mov_b32 s1, 0
	s_addc_u32 s3, s17, s3
	s_lshl_b64 s[0:1], s[0:1], 2
	s_add_u32 s60, s2, s0
	s_addc_u32 s61, s3, s1
	s_waitcnt lgkmcnt(0)
	s_bfe_u32 s65, s8, 0xf0001
	v_cvt_f32_u32_e32 v1, s65
	s_and_b32 s62, s8, 0xffff
	s_lshl_b32 s0, s62, 2
	s_add_i32 s63, s0, 0
	v_rcp_iflag_f32_e32 v1, v1
	s_not_b32 s64, s20
	s_lshl_b32 s0, 1, s20
	s_lshl_b32 s70, 2, s20
	s_mul_i32 s8, s70, s6
	s_cmp_gt_i32 s0, 1
	v_mul_f32_e32 v1, 0x4f7ffffe, v1
	s_cselect_b64 s[14:15], -1, 0
	s_ashr_i32 s9, s8, 31
	v_cvt_u32_f32_e32 v1, v1
	s_cmp_gt_i32 s70, 1
	s_cselect_b64 s[16:17], -1, 0
	s_cmp_gt_i32 s21, 0
	s_cselect_b64 s[28:29], -1, 0
	s_sub_i32 s0, 0, s65
	v_mul_lo_u32 v2, s0, v1
	v_add_u32_e32 v12, s63, v3
	s_load_dword s4, s[4:5], 0x58
	s_add_u32 s25, s30, s10
	v_mul_hi_u32 v2, v1, v2
	s_addc_u32 s35, s31, s11
	s_add_u32 s30, s18, s25
	s_addc_u32 s31, s19, s35
	v_add_u32_e32 v1, v1, v2
	v_mul_hi_u32 v1, v0, v1
	v_cmp_gt_u32_e64 s[0:1], s65, v0
	v_cmp_le_u32_e64 s[2:3], s65, v0
	s_mul_i32 s67, s23, s65
	v_mul_lo_u32 v2, v1, s65
	v_add_u32_e32 v3, 1, v1
	v_mov_b32_e32 v18, 0x260
	v_sub_u32_e32 v2, v0, v2
	v_cmp_le_u32_e32 vcc, s65, v2
	v_cndmask_b32_e32 v1, v1, v3, vcc
	v_subrev_u32_e32 v3, s65, v2
	v_cndmask_b32_e32 v2, v2, v3, vcc
	v_add_u32_e32 v3, 1, v1
	v_cmp_le_u32_e32 vcc, s65, v2
	v_cndmask_b32_e32 v1, v1, v3, vcc
	v_mul_lo_u32 v2, v1, s65
	v_lshlrev_b32_e32 v1, s20, v1
	v_add_u32_e32 v1, s8, v1
	v_mov_b32_e32 v3, 0x41000000
	v_sub_u32_e32 v14, v0, v2
	v_ashrrev_i32_e32 v2, 31, v1
	v_lshlrev_b64 v[1:2], 2, v[1:2]
	s_waitcnt lgkmcnt(0)
	v_mul_f32_e32 v13, s4, v3
	v_add_co_u32_e32 v4, vcc, s30, v1
	s_lshl_b32 s30, s62, 1
	v_mov_b32_e32 v3, s31
	s_and_b32 s66, s30, 0x1fffc
	s_lshl_b64 s[30:31], s[8:9], 2
	s_add_u32 s8, s25, s30
	s_addc_u32 s9, s35, s31
	s_add_u32 s8, s18, s8
	s_addc_u32 s9, s19, s9
	;; [unrolled: 2-line block ×3, first 2 shown]
	s_add_i32 s70, s70, -1
	s_mul_i32 s9, s34, 12
	s_mul_hi_i32 s8, s34, 12
	s_add_u32 s9, s9, s10
	s_addc_u32 s8, s8, s11
	s_add_u32 s9, s18, s9
	v_addc_co_u32_e32 v3, vcc, v3, v2, vcc
	s_addc_u32 s8, s19, s8
	v_add_co_u32_e32 v15, vcc, 12, v4
	s_add_u32 s71, s9, 8
	s_mov_b32 s18, 0x667f3bcd
	v_cmp_eq_u32_e64 s[4:5], 0, v0
	v_addc_co_u32_e32 v16, vcc, 0, v3, vcc
	s_bfm_b32 s20, s20, 0
	s_addc_u32 s72, s8, 0
	s_mov_b32 s19, 0x3ff6a09e
	s_branch .LBB6_6
.LBB6_5:                                ;   in Loop: Header=BB6_6 Depth=1
	s_add_i32 s24, s24, 8
	s_cmp_ge_i32 s24, s33
	s_cbranch_scc1 .LBB6_81
.LBB6_6:                                ; =>This Loop Header: Depth=1
                                        ;     Child Loop BB6_14 Depth 2
                                        ;     Child Loop BB6_21 Depth 2
	;; [unrolled: 1-line block ×7, first 2 shown]
                                        ;       Child Loop BB6_41 Depth 3
                                        ;         Child Loop BB6_72 Depth 4
                                        ;     Child Loop BB6_77 Depth 2
	s_ashr_i32 s25, s24, 31
	s_lshl_b64 s[8:9], s[24:25], 2
	s_add_u32 s8, s7, s8
	s_addc_u32 s9, s22, s9
	s_waitcnt vmcnt(0)
	s_barrier
	global_load_dwordx2 v[3:4], v17, s[8:9]
	s_mov_b32 s10, 0
	s_waitcnt vmcnt(0)
	v_readfirstlane_b32 s8, v3
	v_readfirstlane_b32 s9, v4
	s_sub_i32 s9, s9, s8
	s_cmp_lt_i32 s9, 3
	s_cbranch_scc1 .LBB6_11
; %bb.7:                                ;   in Loop: Header=BB6_6 Depth=1
	s_cmp_lt_u32 s9, 5
	s_mov_b32 s10, 1
	s_cbranch_scc1 .LBB6_11
; %bb.8:                                ;   in Loop: Header=BB6_6 Depth=1
	s_cmp_lt_u32 s9, 33
	s_mov_b32 s10, 2
	s_cbranch_scc1 .LBB6_11
; %bb.9:                                ;   in Loop: Header=BB6_6 Depth=1
	s_cmpk_lt_u32 s9, 0xe9
	s_mov_b32 s10, 4
	s_cbranch_scc1 .LBB6_11
; %bb.10:                               ;   in Loop: Header=BB6_6 Depth=1
	s_cmpk_lt_u32 s9, 0x128
	s_cselect_b32 s10, 5, 7
	s_cmpk_lt_u32 s9, 0x79b
	s_cselect_b32 s10, s10, 8
.LBB6_11:                               ;   in Loop: Header=BB6_6 Depth=1
	s_add_i32 s9, s10, s64
	s_lshl_b32 s10, 1, s9
	s_cmp_gt_i32 s9, -1
	s_cselect_b32 s9, s10, 0
	s_cmp_ge_i32 s6, s9
	s_cbranch_scc1 .LBB6_5
; %bb.12:                               ;   in Loop: Header=BB6_6 Depth=1
	s_ashr_i32 s9, s8, 31
	s_lshl_b64 s[10:11], s[8:9], 2
	s_add_u32 s25, s26, s10
	s_addc_u32 s40, s27, s11
	s_add_u32 s38, s52, s10
	s_addc_u32 s39, s53, s11
	v_mov_b32_e32 v4, s39
	v_add_co_u32_e32 v3, vcc, s38, v1
	v_addc_co_u32_e32 v4, vcc, v4, v2, vcc
	v_mov_b32_e32 v5, s40
	v_add_co_u32_e32 v6, vcc, s25, v1
	v_addc_co_u32_e32 v7, vcc, v5, v2, vcc
	global_load_dword v5, v[3:4], off offset:8
	s_nop 0
	global_load_dword v3, v[6:7], off offset:8
	s_andn2_b64 vcc, exec, s[14:15]
	s_cbranch_vccnz .LBB6_15
; %bb.13:                               ;   in Loop: Header=BB6_6 Depth=1
	v_mov_b32_e32 v4, s11
	v_add_co_u32_e32 v6, vcc, s10, v15
	v_addc_co_u32_e32 v7, vcc, v16, v4, vcc
	s_mov_b32 s8, s20
.LBB6_14:                               ;   Parent Loop BB6_6 Depth=1
                                        ; =>  This Inner Loop Header: Depth=2
	global_load_dword v4, v[6:7], off
	v_add_co_u32_e32 v6, vcc, 4, v6
	s_add_i32 s8, s8, -1
	v_addc_co_u32_e32 v7, vcc, 0, v7, vcc
	s_cmp_eq_u32 s8, 0
	s_waitcnt vmcnt(0)
	v_add_u32_e32 v3, v4, v3
	s_cbranch_scc0 .LBB6_14
.LBB6_15:                               ;   in Loop: Header=BB6_6 Depth=1
	s_waitcnt vmcnt(1)
	v_ashrrev_i32_e32 v6, 31, v5
                                        ; implicit-def: $vgpr7_vgpr8
	s_and_saveexec_b64 s[8:9], s[2:3]
	s_xor_b64 s[8:9], exec, s[8:9]
; %bb.16:                               ;   in Loop: Header=BB6_6 Depth=1
	v_lshlrev_b64 v[7:8], 2, v[5:6]
	v_mov_b32_e32 v4, s51
	v_add_co_u32_e32 v7, vcc, s50, v7
	v_addc_co_u32_e32 v4, vcc, v4, v8, vcc
	v_add_co_u32_e32 v7, vcc, -4, v7
	v_addc_co_u32_e32 v8, vcc, -1, v4, vcc
; %bb.17:                               ;   in Loop: Header=BB6_6 Depth=1
	s_or_saveexec_b64 s[8:9], s[8:9]
	s_waitcnt vmcnt(0)
	v_ashrrev_i32_e32 v4, 31, v3
	s_xor_b64 exec, exec, s[8:9]
; %bb.18:                               ;   in Loop: Header=BB6_6 Depth=1
	v_add_co_u32_e32 v7, vcc, v5, v3
	v_addc_co_u32_e32 v8, vcc, v6, v4, vcc
	v_lshlrev_b64 v[7:8], 2, v[7:8]
	v_mov_b32_e32 v9, s51
	v_add_co_u32_e32 v7, vcc, s50, v7
	v_addc_co_u32_e32 v8, vcc, v9, v8, vcc
	v_add_co_u32_e32 v7, vcc, -4, v7
	v_addc_co_u32_e32 v8, vcc, -1, v8, vcc
; %bb.19:                               ;   in Loop: Header=BB6_6 Depth=1
	s_or_b64 exec, exec, s[8:9]
	global_load_dword v10, v[7:8], off
	v_cmp_lt_i32_e32 vcc, v14, v3
	v_mov_b32_e32 v7, 0
	v_mov_b32_e32 v8, 0
	s_and_saveexec_b64 s[34:35], vcc
	s_cbranch_execz .LBB6_25
; %bb.20:                               ;   in Loop: Header=BB6_6 Depth=1
	v_lshlrev_b64 v[6:7], 2, v[5:6]
	v_mov_b32_e32 v8, s13
	v_add_co_u32_e32 v9, vcc, s12, v6
	v_addc_co_u32_e32 v8, vcc, v8, v7, vcc
	v_lshlrev_b64 v[6:7], 2, v[3:4]
	s_mov_b64 s[8:9], 0
	v_add_co_u32_e32 v4, vcc, v9, v6
	v_addc_co_u32_e32 v6, vcc, v8, v7, vcc
	v_add_co_u32_e32 v4, vcc, -4, v4
	v_addc_co_u32_e32 v6, vcc, -1, v6, vcc
	v_cndmask_b32_e64 v19, v8, v6, s[0:1]
	v_add_u32_e32 v6, v14, v5
	v_ashrrev_i32_e32 v7, 31, v6
	v_cndmask_b32_e64 v20, v9, v4, s[0:1]
	v_lshlrev_b64 v[4:5], 2, v[6:7]
	v_mul_lo_u32 v6, s23, v6
	v_mov_b32_e32 v7, s59
	v_add_co_u32_e32 v8, vcc, s58, v4
	v_addc_co_u32_e32 v9, vcc, v7, v5, vcc
	v_mov_b32_e32 v21, v14
.LBB6_21:                               ;   Parent Loop BB6_6 Depth=1
                                        ; =>  This Inner Loop Header: Depth=2
	v_ashrrev_i32_e32 v7, 31, v6
	v_lshlrev_b64 v[22:23], 2, v[6:7]
	v_add_u32_e32 v21, s65, v21
	v_add_co_u32_e32 v22, vcc, v20, v22
	v_addc_co_u32_e32 v23, vcc, v19, v23, vcc
	global_load_dword v7, v[22:23], off
	v_add_u32_e32 v6, s67, v6
	s_waitcnt vmcnt(0)
	v_cvt_f64_f32_e32 v[22:23], v7
	v_div_scale_f64 v[24:25], s[36:37], s[18:19], s[18:19], v[22:23]
	v_rcp_f64_e32 v[26:27], v[24:25]
	v_fma_f64 v[28:29], -v[24:25], v[26:27], 1.0
	v_fma_f64 v[26:27], v[26:27], v[28:29], v[26:27]
	v_div_scale_f64 v[28:29], vcc, v[22:23], s[18:19], v[22:23]
	v_fma_f64 v[30:31], -v[24:25], v[26:27], 1.0
	v_fma_f64 v[26:27], v[26:27], v[30:31], v[26:27]
	v_mul_f64 v[30:31], v[28:29], v[26:27]
	v_fma_f64 v[24:25], -v[24:25], v[30:31], v[28:29]
	v_div_fmas_f64 v[24:25], v[24:25], v[26:27], v[30:31]
	v_cmp_ge_i32_e32 vcc, v21, v3
	s_or_b64 s[8:9], vcc, s[8:9]
	v_div_fixup_f64 v[22:23], v[24:25], s[18:19], v[22:23]
	v_cvt_f32_f64_e32 v7, v[22:23]
	global_store_dword v[8:9], v7, off
	v_add_co_u32_e32 v8, vcc, s66, v8
	v_addc_co_u32_e32 v9, vcc, 0, v9, vcc
	s_andn2_b64 exec, exec, s[8:9]
	s_cbranch_execnz .LBB6_21
; %bb.22:                               ;   in Loop: Header=BB6_6 Depth=1
	s_or_b64 exec, exec, s[8:9]
	v_mov_b32_e32 v7, 0
	s_mov_b64 s[36:37], 0
	v_mov_b32_e32 v6, v14
	v_mov_b32_e32 v8, 0
.LBB6_23:                               ;   Parent Loop BB6_6 Depth=1
                                        ; =>  This Inner Loop Header: Depth=2
	v_mov_b32_e32 v9, s49
	v_add_co_u32_e64 v21, s[8:9], s48, v4
	v_mov_b32_e32 v20, s59
	v_add_co_u32_e32 v19, vcc, s58, v4
	v_addc_co_u32_e64 v22, s[8:9], v9, v5, s[8:9]
	v_addc_co_u32_e32 v20, vcc, v20, v5, vcc
	global_load_dword v9, v[21:22], off
	s_nop 0
	global_load_dword v19, v[19:20], off
	v_add_co_u32_e32 v4, vcc, s66, v4
	v_add_u32_e32 v6, s65, v6
	v_addc_co_u32_e32 v5, vcc, 0, v5, vcc
	v_cmp_ge_i32_e32 vcc, v6, v3
	s_or_b64 s[36:37], vcc, s[36:37]
	s_waitcnt vmcnt(1)
	v_cmp_gt_f32_e64 s[8:9], |v9|, v8
	v_cndmask_b32_e64 v8, v8, |v9|, s[8:9]
	s_waitcnt vmcnt(0)
	v_cmp_gt_f32_e64 s[8:9], |v19|, v7
	v_cndmask_b32_e64 v7, v7, |v19|, s[8:9]
	s_andn2_b64 exec, exec, s[36:37]
	s_cbranch_execnz .LBB6_23
; %bb.24:                               ;   in Loop: Header=BB6_6 Depth=1
	s_or_b64 exec, exec, s[36:37]
.LBB6_25:                               ;   in Loop: Header=BB6_6 Depth=1
	s_or_b64 exec, exec, s[34:35]
	s_mov_b32 s34, s65
	ds_write_b32 v11, v8
	ds_write_b32 v12, v7
	s_waitcnt vmcnt(0) lgkmcnt(0)
	s_barrier
	s_branch .LBB6_27
.LBB6_26:                               ;   in Loop: Header=BB6_27 Depth=2
	s_or_b64 exec, exec, s[8:9]
	s_lshr_b32 s8, s34, 1
	s_cmp_gt_u32 s34, 1
	s_mov_b32 s34, s8
	s_waitcnt lgkmcnt(0)
	s_barrier
	s_cbranch_scc0 .LBB6_29
.LBB6_27:                               ;   Parent Loop BB6_6 Depth=1
                                        ; =>  This Inner Loop Header: Depth=2
	v_cmp_gt_u32_e32 vcc, s34, v0
	s_and_saveexec_b64 s[8:9], vcc
	s_cbranch_execz .LBB6_26
; %bb.28:                               ;   in Loop: Header=BB6_27 Depth=2
	s_lshl_b32 s35, s34, 2
	v_add_u32_e32 v3, s35, v11
	ds_read_b32 v3, v3
	v_add_u32_e32 v4, s35, v12
	ds_read_b32 v4, v4
	s_waitcnt lgkmcnt(1)
	v_cmp_gt_f32_e32 vcc, v3, v8
	v_cndmask_b32_e32 v8, v8, v3, vcc
	s_waitcnt lgkmcnt(0)
	v_cmp_gt_f32_e32 vcc, v4, v7
	v_cndmask_b32_e32 v7, v7, v4, vcc
	ds_write_b32 v11, v8
	ds_write_b32 v12, v7
	s_branch .LBB6_26
.LBB6_29:                               ;   in Loop: Header=BB6_6 Depth=1
	s_add_u32 s8, s25, s30
	s_addc_u32 s9, s40, s31
	global_load_dword v5, v17, s[8:9] offset:8
	ds_read_b32 v3, v17
	v_mov_b32_e32 v4, s63
	ds_read_b32 v4, v4
	s_andn2_b64 vcc, exec, s[16:17]
	s_waitcnt vmcnt(0)
	v_readfirstlane_b32 s25, v5
	s_cbranch_vccnz .LBB6_32
; %bb.30:                               ;   in Loop: Header=BB6_6 Depth=1
	s_add_u32 s8, s68, s10
	s_addc_u32 s9, s69, s11
	s_mov_b32 s10, s70
.LBB6_31:                               ;   Parent Loop BB6_6 Depth=1
                                        ; =>  This Inner Loop Header: Depth=2
	global_load_dword v5, v17, s[8:9]
	s_waitcnt vmcnt(0)
	v_readfirstlane_b32 s11, v5
	s_add_i32 s25, s11, s25
	s_add_u32 s8, s8, 4
	s_addc_u32 s9, s9, 0
	s_add_i32 s10, s10, -1
	s_cmp_eq_u32 s10, 0
	s_cbranch_scc0 .LBB6_31
.LBB6_32:                               ;   in Loop: Header=BB6_6 Depth=1
	s_add_u32 s8, s38, s30
	s_addc_u32 s9, s39, s31
	global_load_dword v5, v17, s[8:9] offset:8
	s_waitcnt lgkmcnt(0)
	v_cmp_gt_f32_e32 vcc, v4, v3
	v_cndmask_b32_e32 v3, v3, v4, vcc
	v_add_f32_e32 v19, v10, v10
	v_mul_f32_e32 v20, v13, v3
	v_cmp_gt_i32_e32 vcc, s25, v0
	s_waitcnt vmcnt(0)
	v_readfirstlane_b32 s34, v5
	s_and_saveexec_b64 s[8:9], vcc
	s_cbranch_execz .LBB6_35
; %bb.33:                               ;   in Loop: Header=BB6_6 Depth=1
	s_mov_b64 s[10:11], 0
	v_mov_b32_e32 v3, v0
.LBB6_34:                               ;   Parent Loop BB6_6 Depth=1
                                        ; =>  This Inner Loop Header: Depth=2
	v_add_u32_e32 v4, s34, v3
	v_ashrrev_i32_e32 v5, 31, v4
	v_lshlrev_b64 v[4:5], 2, v[4:5]
	v_mov_b32_e32 v7, s59
	v_add_co_u32_e32 v6, vcc, s58, v4
	v_addc_co_u32_e32 v7, vcc, v7, v5, vcc
	global_load_dword v6, v[6:7], off
	v_add_u32_e32 v3, s62, v3
	v_cmp_le_i32_e32 vcc, s25, v3
	v_mov_b32_e32 v7, s55
	s_or_b64 s[10:11], vcc, s[10:11]
	v_add_co_u32_e32 v4, vcc, s54, v4
	v_addc_co_u32_e32 v5, vcc, v7, v5, vcc
	s_waitcnt vmcnt(0)
	v_mul_f32_e32 v6, v19, v6
	v_cmp_nle_f32_e64 s[36:37], |v6|, v20
	v_cndmask_b32_e64 v6, 0, 1, s[36:37]
	global_store_dword v[4:5], v6, off offset:8
	s_andn2_b64 exec, exec, s[10:11]
	s_cbranch_execnz .LBB6_34
.LBB6_35:                               ;   in Loop: Header=BB6_6 Depth=1
	s_or_b64 exec, exec, s[8:9]
	s_and_b32 s8, s25, 0x80000001
	s_cmp_eq_u32 s8, 1
	s_cselect_b64 s[8:9], -1, 0
	s_cmp_lg_u64 s[8:9], 0
	s_addc_u32 s35, s25, 0
	s_cmp_lt_i32 s35, 2
	s_waitcnt vmcnt(0)
	s_barrier
	s_cbranch_scc1 .LBB6_73
; %bb.36:                               ;   in Loop: Header=BB6_6 Depth=1
	s_lshr_b32 s8, s35, 31
	s_add_i32 s8, s35, s8
	s_ashr_i32 s74, s8, 1
	s_add_i32 s75, s35, -1
	v_cmp_gt_i32_e64 s[8:9], s74, v0
	s_add_i32 s76, s74, -1
	s_add_i32 s77, s35, -2
	s_mov_b32 s78, 0
	s_branch .LBB6_38
.LBB6_37:                               ;   in Loop: Header=BB6_38 Depth=2
	s_or_b64 exec, exec, s[36:37]
	s_add_i32 s78, s78, 1
	s_cmp_eq_u32 s78, s75
	s_cbranch_scc1 .LBB6_73
.LBB6_38:                               ;   Parent Loop BB6_6 Depth=1
                                        ; =>  This Loop Header: Depth=2
                                        ;       Child Loop BB6_41 Depth 3
                                        ;         Child Loop BB6_72 Depth 4
	s_and_saveexec_b64 s[36:37], s[8:9]
	s_cbranch_execz .LBB6_37
; %bb.39:                               ;   in Loop: Header=BB6_38 Depth=2
	s_mov_b64 s[38:39], 0
	v_mov_b32_e32 v21, v0
	s_branch .LBB6_41
.LBB6_40:                               ;   in Loop: Header=BB6_41 Depth=3
	s_or_b64 exec, exec, s[40:41]
	v_add_u32_e32 v21, s62, v21
	v_cmp_le_i32_e32 vcc, s74, v21
	s_or_b64 s[38:39], vcc, s[38:39]
	s_waitcnt vmcnt(0)
	s_barrier
	s_andn2_b64 exec, exec, s[38:39]
	s_cbranch_execz .LBB6_37
.LBB6_41:                               ;   Parent Loop BB6_6 Depth=1
                                        ;     Parent Loop BB6_38 Depth=2
                                        ; =>    This Loop Header: Depth=3
                                        ;         Child Loop BB6_72 Depth 4
	v_mov_b32_e32 v5, 0
	v_cmp_ne_u32_e32 vcc, 0, v21
	s_and_saveexec_b64 s[10:11], vcc
	s_cbranch_execz .LBB6_49
; %bb.42:                               ;   in Loop: Header=BB6_41 Depth=3
	v_subrev_u32_e32 v3, s78, v21
	v_lshlrev_b32_e32 v5, 1, v3
	v_cmp_ge_u32_e32 vcc, s78, v21
	s_and_saveexec_b64 s[40:41], vcc
	s_cbranch_execz .LBB6_48
; %bb.43:                               ;   in Loop: Header=BB6_41 Depth=3
	v_add_u32_e32 v4, s76, v21
	v_cmp_le_i32_e32 vcc, s78, v4
	s_and_saveexec_b64 s[42:43], vcc
	s_xor_b64 s[42:43], exec, s[42:43]
; %bb.44:                               ;   in Loop: Header=BB6_41 Depth=3
	v_sub_u32_e32 v5, 1, v5
                                        ; implicit-def: $vgpr3
; %bb.45:                               ;   in Loop: Header=BB6_41 Depth=3
	s_andn2_saveexec_b64 s[42:43], s[42:43]
; %bb.46:                               ;   in Loop: Header=BB6_41 Depth=3
	v_add_lshl_u32 v5, v3, s75, 1
; %bb.47:                               ;   in Loop: Header=BB6_41 Depth=3
	s_or_b64 exec, exec, s[42:43]
.LBB6_48:                               ;   in Loop: Header=BB6_41 Depth=3
	s_or_b64 exec, exec, s[40:41]
.LBB6_49:                               ;   in Loop: Header=BB6_41 Depth=3
	s_or_b64 exec, exec, s[10:11]
	v_sub_u32_e32 v4, s74, v21
	v_add_u32_e32 v3, s78, v21
	v_cmp_ge_i32_e32 vcc, s78, v4
                                        ; implicit-def: $vgpr6
	s_and_saveexec_b64 s[10:11], vcc
	s_xor_b64 s[10:11], exec, s[10:11]
	s_cbranch_execz .LBB6_55
; %bb.50:                               ;   in Loop: Header=BB6_41 Depth=3
	v_sub_u32_e32 v4, s77, v21
	v_cmp_le_i32_e32 vcc, s78, v4
                                        ; implicit-def: $vgpr6
	s_and_saveexec_b64 s[40:41], vcc
	s_xor_b64 s[40:41], exec, s[40:41]
; %bb.51:                               ;   in Loop: Header=BB6_41 Depth=3
	v_sub_u32_e32 v3, s75, v3
	v_lshlrev_b32_e32 v6, 1, v3
                                        ; implicit-def: $vgpr3
; %bb.52:                               ;   in Loop: Header=BB6_41 Depth=3
	s_andn2_saveexec_b64 s[40:41], s[40:41]
; %bb.53:                               ;   in Loop: Header=BB6_41 Depth=3
	v_subrev_u32_e32 v3, s35, v3
	v_lshl_add_u32 v6, v3, 1, 3
; %bb.54:                               ;   in Loop: Header=BB6_41 Depth=3
	s_or_b64 exec, exec, s[40:41]
                                        ; implicit-def: $vgpr3
.LBB6_55:                               ;   in Loop: Header=BB6_41 Depth=3
	s_andn2_saveexec_b64 s[10:11], s[10:11]
; %bb.56:                               ;   in Loop: Header=BB6_41 Depth=3
	v_lshl_or_b32 v6, v3, 1, 1
; %bb.57:                               ;   in Loop: Header=BB6_41 Depth=3
	s_or_b64 exec, exec, s[10:11]
	v_min_i32_e32 v3, v5, v6
	v_add_u32_e32 v3, s34, v3
	v_ashrrev_i32_e32 v4, 31, v3
	v_lshlrev_b64 v[7:8], 2, v[3:4]
	v_mov_b32_e32 v4, s55
	v_add_co_u32_e32 v9, vcc, s54, v7
	v_addc_co_u32_e32 v10, vcc, v4, v8, vcc
	global_load_dword v4, v[9:10], off offset:8
	s_waitcnt vmcnt(0)
	v_cmp_eq_u32_e32 vcc, 1, v4
	s_and_saveexec_b64 s[40:41], vcc
	s_cbranch_execz .LBB6_40
; %bb.58:                               ;   in Loop: Header=BB6_41 Depth=3
	v_max_i32_e32 v22, v5, v6
	v_add_u32_e32 v4, s34, v22
	v_ashrrev_i32_e32 v5, 31, v4
	v_lshlrev_b64 v[5:6], 2, v[4:5]
	v_mov_b32_e32 v10, s55
	v_add_co_u32_e32 v9, vcc, s54, v5
	v_addc_co_u32_e32 v10, vcc, v10, v6, vcc
	global_load_dword v23, v[9:10], off offset:8
	v_cmp_gt_i32_e64 s[10:11], s25, v22
	s_waitcnt vmcnt(0)
	v_cmp_eq_u32_e32 vcc, 1, v23
	s_and_b64 s[10:11], vcc, s[10:11]
	s_and_b64 exec, exec, s[10:11]
	s_cbranch_execz .LBB6_40
; %bb.59:                               ;   in Loop: Header=BB6_41 Depth=3
	v_mov_b32_e32 v25, s49
	v_add_co_u32_e32 v22, vcc, s48, v7
	v_addc_co_u32_e32 v23, vcc, v25, v8, vcc
	v_add_co_u32_e32 v24, vcc, s48, v5
	v_addc_co_u32_e32 v25, vcc, v25, v6, vcc
	global_load_dword v22, v[22:23], off
	s_nop 0
	global_load_dword v23, v[24:25], off
	s_waitcnt vmcnt(0)
	v_sub_f32_e32 v22, v22, v23
	v_cmp_le_f32_e64 s[10:11], |v22|, v20
	s_and_b64 exec, exec, s[10:11]
	s_cbranch_execz .LBB6_40
; %bb.60:                               ;   in Loop: Header=BB6_41 Depth=3
	v_mov_b32_e32 v22, s59
	v_add_co_u32_e32 v5, vcc, s58, v5
	v_addc_co_u32_e32 v6, vcc, v22, v6, vcc
	v_add_co_u32_e32 v7, vcc, s58, v7
	global_load_dword v23, v[5:6], off
	v_addc_co_u32_e32 v8, vcc, v22, v8, vcc
	global_load_dword v22, v[7:8], off
	s_waitcnt vmcnt(1)
	v_cmp_neq_f32_e32 vcc, 0, v23
	global_store_dword v[9:10], v17, off offset:8
	v_mov_b32_e32 v9, 0
	v_mov_b32_e32 v10, 1.0
	s_and_saveexec_b64 s[42:43], vcc
	s_cbranch_execz .LBB6_70
; %bb.61:                               ;   in Loop: Header=BB6_41 Depth=3
	s_waitcnt vmcnt(1)
	v_cmp_neq_f32_e32 vcc, 0, v22
	v_xor_b32_e32 v24, 0x80000000, v23
                                        ; implicit-def: $vgpr9
                                        ; implicit-def: $vgpr10
	s_and_saveexec_b64 s[10:11], vcc
	s_xor_b64 s[44:45], exec, s[10:11]
	s_cbranch_execz .LBB6_67
; %bb.62:                               ;   in Loop: Header=BB6_41 Depth=3
	v_cmp_ngt_f32_e64 s[10:11], |v23|, |v22|
                                        ; implicit-def: $vgpr9
                                        ; implicit-def: $vgpr10
	s_and_saveexec_b64 s[46:47], s[10:11]
	s_xor_b64 s[46:47], exec, s[46:47]
	s_cbranch_execz .LBB6_64
; %bb.63:                               ;   in Loop: Header=BB6_41 Depth=3
	v_div_scale_f32 v9, s[10:11], v22, v22, -v23
	v_div_scale_f32 v10, vcc, -v23, v22, -v23
	v_rcp_f32_e32 v24, v9
	v_fma_f32 v25, -v9, v24, 1.0
	v_fmac_f32_e32 v24, v25, v24
	v_mul_f32_e32 v25, v10, v24
	v_fma_f32 v26, -v9, v25, v10
	v_fmac_f32_e32 v25, v26, v24
	v_fma_f32 v9, -v9, v25, v10
	v_div_fmas_f32 v9, v9, v24, v25
	v_div_fixup_f32 v9, v9, v22, -v23
	v_fma_f32 v10, v9, v9, 1.0
	v_mul_f32_e32 v24, 0x4f800000, v10
	v_cmp_gt_f32_e32 vcc, s73, v10
	v_cndmask_b32_e32 v10, v10, v24, vcc
	v_sqrt_f32_e32 v24, v10
	v_add_u32_e32 v25, -1, v24
	v_add_u32_e32 v26, 1, v24
	v_fma_f32 v27, -v25, v24, v10
	v_fma_f32 v28, -v26, v24, v10
	v_cmp_ge_f32_e64 s[10:11], 0, v27
	v_cndmask_b32_e64 v24, v24, v25, s[10:11]
	v_cmp_lt_f32_e64 s[10:11], 0, v28
	v_cndmask_b32_e64 v24, v24, v26, s[10:11]
	v_mul_f32_e32 v25, 0x37800000, v24
	v_cndmask_b32_e32 v24, v24, v25, vcc
	v_cmp_class_f32_e32 vcc, v10, v18
	v_cndmask_b32_e32 v10, v24, v10, vcc
	v_div_scale_f32 v24, s[10:11], v10, v10, 1.0
	v_div_scale_f32 v25, vcc, 1.0, v10, 1.0
	v_rcp_f32_e32 v26, v24
	v_fma_f32 v27, -v24, v26, 1.0
	v_fmac_f32_e32 v26, v27, v26
	v_mul_f32_e32 v27, v25, v26
	v_fma_f32 v28, -v24, v27, v25
	v_fmac_f32_e32 v27, v28, v26
	v_fma_f32 v24, -v24, v27, v25
	v_div_fmas_f32 v24, v24, v26, v27
	v_div_fixup_f32 v10, v24, v10, 1.0
	v_mul_f32_e32 v9, v9, v10
.LBB6_64:                               ;   in Loop: Header=BB6_41 Depth=3
	s_andn2_saveexec_b64 s[46:47], s[46:47]
	s_cbranch_execz .LBB6_66
; %bb.65:                               ;   in Loop: Header=BB6_41 Depth=3
	v_div_scale_f32 v9, s[10:11], v23, v23, -v22
	v_div_scale_f32 v10, vcc, -v22, v23, -v22
	v_rcp_f32_e32 v24, v9
	v_fma_f32 v25, -v9, v24, 1.0
	v_fmac_f32_e32 v24, v25, v24
	v_mul_f32_e32 v25, v10, v24
	v_fma_f32 v26, -v9, v25, v10
	v_fmac_f32_e32 v25, v26, v24
	v_fma_f32 v9, -v9, v25, v10
	v_div_fmas_f32 v9, v9, v24, v25
	v_div_fixup_f32 v10, v9, v23, -v22
	v_fma_f32 v9, v10, v10, 1.0
	v_mul_f32_e32 v24, 0x4f800000, v9
	v_cmp_gt_f32_e32 vcc, s73, v9
	v_cndmask_b32_e32 v9, v9, v24, vcc
	v_sqrt_f32_e32 v24, v9
	v_add_u32_e32 v25, -1, v24
	v_add_u32_e32 v26, 1, v24
	v_fma_f32 v27, -v25, v24, v9
	v_fma_f32 v28, -v26, v24, v9
	v_cmp_ge_f32_e64 s[10:11], 0, v27
	v_cndmask_b32_e64 v24, v24, v25, s[10:11]
	v_cmp_lt_f32_e64 s[10:11], 0, v28
	v_cndmask_b32_e64 v24, v24, v26, s[10:11]
	v_mul_f32_e32 v25, 0x37800000, v24
	v_cndmask_b32_e32 v24, v24, v25, vcc
	v_cmp_class_f32_e32 vcc, v9, v18
	v_cndmask_b32_e32 v9, v24, v9, vcc
	v_div_scale_f32 v24, s[10:11], v9, v9, 1.0
	v_div_scale_f32 v25, vcc, 1.0, v9, 1.0
	v_rcp_f32_e32 v26, v24
	v_fma_f32 v27, -v24, v26, 1.0
	v_fmac_f32_e32 v26, v27, v26
	v_mul_f32_e32 v27, v25, v26
	v_fma_f32 v28, -v24, v27, v25
	v_fmac_f32_e32 v27, v28, v26
	v_fma_f32 v24, -v24, v27, v25
	v_div_fmas_f32 v24, v24, v26, v27
	v_div_fixup_f32 v9, v24, v9, 1.0
	v_mul_f32_e32 v10, v10, v9
.LBB6_66:                               ;   in Loop: Header=BB6_41 Depth=3
	s_or_b64 exec, exec, s[46:47]
	v_mul_f32_e32 v23, v23, v9
	v_fma_f32 v24, v22, v10, -v23
.LBB6_67:                               ;   in Loop: Header=BB6_41 Depth=3
	s_andn2_saveexec_b64 s[10:11], s[44:45]
; %bb.68:                               ;   in Loop: Header=BB6_41 Depth=3
	v_mov_b32_e32 v10, 0
	v_mov_b32_e32 v9, 1.0
; %bb.69:                               ;   in Loop: Header=BB6_41 Depth=3
	s_or_b64 exec, exec, s[10:11]
	v_mov_b32_e32 v22, v24
.LBB6_70:                               ;   in Loop: Header=BB6_41 Depth=3
	s_or_b64 exec, exec, s[42:43]
	s_andn2_b64 vcc, exec, s[28:29]
	s_waitcnt vmcnt(1)
	global_store_dword v[7:8], v22, off
	global_store_dword v[5:6], v17, off
	s_cbranch_vccnz .LBB6_40
; %bb.71:                               ;   in Loop: Header=BB6_41 Depth=3
	v_mul_lo_u32 v4, v4, s23
	v_mul_lo_u32 v6, v3, s23
	v_mov_b32_e32 v8, s13
	s_mov_b32 s10, s21
	v_ashrrev_i32_e32 v5, 31, v4
	v_lshlrev_b64 v[3:4], 2, v[4:5]
	v_ashrrev_i32_e32 v7, 31, v6
	v_add_co_u32_e32 v3, vcc, s12, v3
	v_lshlrev_b64 v[5:6], 2, v[6:7]
	v_addc_co_u32_e32 v4, vcc, v8, v4, vcc
	v_add_co_u32_e32 v5, vcc, s12, v5
	v_addc_co_u32_e32 v6, vcc, v8, v6, vcc
.LBB6_72:                               ;   Parent Loop BB6_6 Depth=1
                                        ;     Parent Loop BB6_38 Depth=2
                                        ;       Parent Loop BB6_41 Depth=3
                                        ; =>      This Inner Loop Header: Depth=4
	global_load_dword v7, v[3:4], off
	global_load_dword v8, v[5:6], off
	s_add_i32 s10, s10, -1
	s_cmp_lg_u32 s10, 0
	s_waitcnt vmcnt(1)
	v_mul_f32_e32 v22, v9, v7
	v_mul_f32_e32 v7, v10, v7
	s_waitcnt vmcnt(0)
	v_fma_f32 v22, v10, v8, -v22
	v_fmac_f32_e32 v7, v9, v8
	global_store_dword v[5:6], v22, off
	global_store_dword v[3:4], v7, off
	v_add_co_u32_e32 v3, vcc, 4, v3
	v_addc_co_u32_e32 v4, vcc, 0, v4, vcc
	v_add_co_u32_e32 v5, vcc, 4, v5
	v_addc_co_u32_e32 v6, vcc, 0, v6, vcc
	s_cbranch_scc1 .LBB6_72
	s_branch .LBB6_40
.LBB6_73:                               ;   in Loop: Header=BB6_6 Depth=1
	s_cmp_lt_i32 s25, 1
	s_cbranch_scc1 .LBB6_5
; %bb.74:                               ;   in Loop: Header=BB6_6 Depth=1
	s_mul_i32 s8, s34, s21
	s_ashr_i32 s9, s8, 31
	s_lshl_b64 s[8:9], s[8:9], 2
	s_add_u32 s46, s60, s8
	s_addc_u32 s47, s61, s9
	s_ashr_i32 s35, s34, 31
	s_lshl_b64 s[36:37], s[34:35], 2
	s_add_u32 s10, s48, s36
	s_addc_u32 s11, s49, s37
	s_add_u32 s34, s58, s36
	s_addc_u32 s35, s59, s37
	;; [unrolled: 2-line block ×3, first 2 shown]
	s_add_u32 s36, s71, s36
	v_cmp_gt_f32_e64 s[8:9], 0, v19
	s_addc_u32 s37, s72, s37
	s_mov_b32 s76, 0
	s_mov_b64 s[38:39], s[34:35]
	s_mov_b32 s40, 0
	s_branch .LBB6_77
.LBB6_75:                               ;   in Loop: Header=BB6_77 Depth=2
	s_or_b64 exec, exec, s[42:43]
	s_add_i32 s40, s40, 1
.LBB6_76:                               ;   in Loop: Header=BB6_77 Depth=2
	s_add_i32 s76, s76, 1
	s_add_u32 s36, s36, 4
	s_addc_u32 s37, s37, 0
	s_add_u32 s10, s10, 4
	s_addc_u32 s11, s11, 0
	;; [unrolled: 2-line block ×3, first 2 shown]
	s_cmp_lg_u32 s25, s76
	s_cbranch_scc0 .LBB6_5
.LBB6_77:                               ;   Parent Loop BB6_6 Depth=1
                                        ; =>  This Inner Loop Header: Depth=2
	global_load_dword v3, v17, s[36:37]
	s_waitcnt vmcnt(0)
	v_cmp_ne_u32_e32 vcc, 1, v3
	s_cbranch_vccnz .LBB6_76
; %bb.78:                               ;   in Loop: Header=BB6_77 Depth=2
	s_and_saveexec_b64 s[42:43], s[4:5]
	s_cbranch_execz .LBB6_75
; %bb.79:                               ;   in Loop: Header=BB6_77 Depth=2
	global_load_dword v3, v17, s[10:11]
	s_ashr_i32 s41, s40, 31
	s_lshl_b64 s[44:45], s[40:41], 2
	s_add_u32 s78, s74, s44
	v_mov_b32_e32 v4, s76
	s_addc_u32 s79, s75, s45
	global_store_dword v17, v4, s[78:79] offset:8
	s_add_u32 s78, s46, s44
	s_addc_u32 s79, s47, s45
	s_cmp_eq_u32 s76, s40
	s_waitcnt vmcnt(1)
	v_cndmask_b32_e64 v3, v3, -v3, s[8:9]
	global_store_dword v17, v3, s[78:79]
	s_cbranch_scc1 .LBB6_75
; %bb.80:                               ;   in Loop: Header=BB6_77 Depth=2
	global_load_dword v3, v17, s[38:39]
	s_add_u32 s44, s34, s44
	s_addc_u32 s45, s35, s45
	s_waitcnt vmcnt(0)
	global_store_dword v17, v3, s[44:45]
	s_branch .LBB6_75
.LBB6_81:
	s_endpgm
.LBB6_82:
                                        ; implicit-def: $sgpr12_sgpr13
                                        ; implicit-def: $sgpr2
	s_branch .LBB6_2
	.section	.rodata,"a",@progbits
	.p2align	6, 0x0
	.amdhsa_kernel _ZN9rocsolver6v33100L26stedcj_mergePrepare_kernelIfEEviiPT_lS3_lS3_iilS3_S3_PiS2_
		.amdhsa_group_segment_fixed_size 0
		.amdhsa_private_segment_fixed_size 0
		.amdhsa_kernarg_size 352
		.amdhsa_user_sgpr_count 6
		.amdhsa_user_sgpr_private_segment_buffer 1
		.amdhsa_user_sgpr_dispatch_ptr 0
		.amdhsa_user_sgpr_queue_ptr 0
		.amdhsa_user_sgpr_kernarg_segment_ptr 1
		.amdhsa_user_sgpr_dispatch_id 0
		.amdhsa_user_sgpr_flat_scratch_init 0
		.amdhsa_user_sgpr_private_segment_size 0
		.amdhsa_uses_dynamic_stack 0
		.amdhsa_system_sgpr_private_segment_wavefront_offset 0
		.amdhsa_system_sgpr_workgroup_id_x 1
		.amdhsa_system_sgpr_workgroup_id_y 1
		.amdhsa_system_sgpr_workgroup_id_z 1
		.amdhsa_system_sgpr_workgroup_info 0
		.amdhsa_system_vgpr_workitem_id 0
		.amdhsa_next_free_vgpr 32
		.amdhsa_next_free_sgpr 80
		.amdhsa_reserve_vcc 1
		.amdhsa_reserve_flat_scratch 0
		.amdhsa_float_round_mode_32 0
		.amdhsa_float_round_mode_16_64 0
		.amdhsa_float_denorm_mode_32 3
		.amdhsa_float_denorm_mode_16_64 3
		.amdhsa_dx10_clamp 1
		.amdhsa_ieee_mode 1
		.amdhsa_fp16_overflow 0
		.amdhsa_exception_fp_ieee_invalid_op 0
		.amdhsa_exception_fp_denorm_src 0
		.amdhsa_exception_fp_ieee_div_zero 0
		.amdhsa_exception_fp_ieee_overflow 0
		.amdhsa_exception_fp_ieee_underflow 0
		.amdhsa_exception_fp_ieee_inexact 0
		.amdhsa_exception_int_div_zero 0
	.end_amdhsa_kernel
	.section	.text._ZN9rocsolver6v33100L26stedcj_mergePrepare_kernelIfEEviiPT_lS3_lS3_iilS3_S3_PiS2_,"axG",@progbits,_ZN9rocsolver6v33100L26stedcj_mergePrepare_kernelIfEEviiPT_lS3_lS3_iilS3_S3_PiS2_,comdat
.Lfunc_end6:
	.size	_ZN9rocsolver6v33100L26stedcj_mergePrepare_kernelIfEEviiPT_lS3_lS3_iilS3_S3_PiS2_, .Lfunc_end6-_ZN9rocsolver6v33100L26stedcj_mergePrepare_kernelIfEEviiPT_lS3_lS3_iilS3_S3_PiS2_
                                        ; -- End function
	.set _ZN9rocsolver6v33100L26stedcj_mergePrepare_kernelIfEEviiPT_lS3_lS3_iilS3_S3_PiS2_.num_vgpr, 32
	.set _ZN9rocsolver6v33100L26stedcj_mergePrepare_kernelIfEEviiPT_lS3_lS3_iilS3_S3_PiS2_.num_agpr, 0
	.set _ZN9rocsolver6v33100L26stedcj_mergePrepare_kernelIfEEviiPT_lS3_lS3_iilS3_S3_PiS2_.numbered_sgpr, 80
	.set _ZN9rocsolver6v33100L26stedcj_mergePrepare_kernelIfEEviiPT_lS3_lS3_iilS3_S3_PiS2_.num_named_barrier, 0
	.set _ZN9rocsolver6v33100L26stedcj_mergePrepare_kernelIfEEviiPT_lS3_lS3_iilS3_S3_PiS2_.private_seg_size, 0
	.set _ZN9rocsolver6v33100L26stedcj_mergePrepare_kernelIfEEviiPT_lS3_lS3_iilS3_S3_PiS2_.uses_vcc, 1
	.set _ZN9rocsolver6v33100L26stedcj_mergePrepare_kernelIfEEviiPT_lS3_lS3_iilS3_S3_PiS2_.uses_flat_scratch, 0
	.set _ZN9rocsolver6v33100L26stedcj_mergePrepare_kernelIfEEviiPT_lS3_lS3_iilS3_S3_PiS2_.has_dyn_sized_stack, 0
	.set _ZN9rocsolver6v33100L26stedcj_mergePrepare_kernelIfEEviiPT_lS3_lS3_iilS3_S3_PiS2_.has_recursion, 0
	.set _ZN9rocsolver6v33100L26stedcj_mergePrepare_kernelIfEEviiPT_lS3_lS3_iilS3_S3_PiS2_.has_indirect_call, 0
	.section	.AMDGPU.csdata,"",@progbits
; Kernel info:
; codeLenInByte = 3652
; TotalNumSgprs: 84
; NumVgprs: 32
; ScratchSize: 0
; MemoryBound: 0
; FloatMode: 240
; IeeeMode: 1
; LDSByteSize: 0 bytes/workgroup (compile time only)
; SGPRBlocks: 10
; VGPRBlocks: 7
; NumSGPRsForWavesPerEU: 84
; NumVGPRsForWavesPerEU: 32
; Occupancy: 8
; WaveLimiterHint : 1
; COMPUTE_PGM_RSRC2:SCRATCH_EN: 0
; COMPUTE_PGM_RSRC2:USER_SGPR: 6
; COMPUTE_PGM_RSRC2:TRAP_HANDLER: 0
; COMPUTE_PGM_RSRC2:TGID_X_EN: 1
; COMPUTE_PGM_RSRC2:TGID_Y_EN: 1
; COMPUTE_PGM_RSRC2:TGID_Z_EN: 1
; COMPUTE_PGM_RSRC2:TIDIG_COMP_CNT: 0
	.section	.text._ZN9rocsolver6v33100L25stedcj_mergeValues_kernelIfEEviiPT_lS3_lS3_S3_PiS2_S2_S2_,"axG",@progbits,_ZN9rocsolver6v33100L25stedcj_mergeValues_kernelIfEEviiPT_lS3_lS3_S3_PiS2_S2_S2_,comdat
	.globl	_ZN9rocsolver6v33100L25stedcj_mergeValues_kernelIfEEviiPT_lS3_lS3_S3_PiS2_S2_S2_ ; -- Begin function _ZN9rocsolver6v33100L25stedcj_mergeValues_kernelIfEEviiPT_lS3_lS3_S3_PiS2_S2_S2_
	.p2align	8
	.type	_ZN9rocsolver6v33100L25stedcj_mergeValues_kernelIfEEviiPT_lS3_lS3_S3_PiS2_S2_S2_,@function
_ZN9rocsolver6v33100L25stedcj_mergeValues_kernelIfEEviiPT_lS3_lS3_S3_PiS2_S2_S2_: ; @_ZN9rocsolver6v33100L25stedcj_mergeValues_kernelIfEEviiPT_lS3_lS3_S3_PiS2_S2_S2_
; %bb.0:
	s_load_dwordx2 s[18:19], s[4:5], 0x0
	s_load_dwordx2 s[10:11], s[4:5], 0x38
	s_mov_b32 s16, s7
	s_waitcnt lgkmcnt(0)
	s_mul_i32 s0, s19, 5
	s_add_i32 s0, s0, 2
	s_mul_i32 s0, s0, s8
	s_ashr_i32 s1, s0, 31
	s_lshl_b64 s[12:13], s[0:1], 2
	s_add_u32 s7, s10, s12
	s_addc_u32 s33, s11, s13
	s_ashr_i32 s21, s19, 31
	s_mov_b32 s20, s19
	s_lshl_b64 s[22:23], s[20:21], 2
	s_add_u32 s24, s7, s22
	s_addc_u32 s25, s33, s23
	s_load_dword s86, s[24:25], 0x4
	s_waitcnt lgkmcnt(0)
	s_cmp_ge_i32 s16, s86
	s_cbranch_scc1 .LBB7_250
; %bb.1:
	s_load_dwordx8 s[36:43], s[4:5], 0x8
	s_load_dwordx4 s[0:3], s[4:5], 0x28
	s_load_dword s87, s[4:5], 0x40
	s_ashr_i32 s17, s8, 31
                                        ; implicit-def: $vgpr54 : SGPR spill to VGPR lane
	s_mul_i32 s26, s19, s19
	s_waitcnt lgkmcnt(0)
	s_mul_hi_u32 s9, s38, s8
	s_mul_i32 s14, s38, s17
	s_add_i32 s9, s9, s14
	s_mul_i32 s14, s39, s8
	s_add_i32 s15, s9, s14
	s_mul_i32 s14, s38, s8
	s_lshl_b64 s[14:15], s[14:15], 2
	s_add_u32 s88, s36, s14
	s_mul_hi_u32 s9, s42, s8
	s_mul_i32 s14, s42, s17
	s_addc_u32 s89, s37, s15
	s_add_i32 s14, s9, s14
	s_mul_i32 s9, s43, s8
	s_add_i32 s15, s14, s9
	s_mul_i32 s14, s42, s8
	s_lshl_b64 s[14:15], s[14:15], 2
	s_add_u32 s9, s40, s14
	v_writelane_b32 v54, s9, 0
	s_addc_u32 s9, s41, s15
	v_writelane_b32 v54, s9, 1
	s_add_u32 s9, s24, s22
	s_addc_u32 s14, s25, s23
	v_writelane_b32 v54, s9, 2
	s_add_u32 s9, s9, s22
	v_writelane_b32 v54, s14, 3
	s_addc_u32 s14, s14, s23
	v_writelane_b32 v54, s9, 4
	s_add_u32 s9, s9, s22
	v_writelane_b32 v54, s9, 5
	v_writelane_b32 v54, s14, 6
	s_addc_u32 s9, s14, s23
	s_lshl_b32 s14, s8, 1
	s_mul_i32 s8, s14, s19
	v_writelane_b32 v54, s9, 7
	s_ashr_i32 s9, s8, 31
	s_lshl_b64 s[8:9], s[8:9], 2
	s_add_u32 s28, s0, s8
	s_addc_u32 s29, s1, s9
	s_add_u32 s90, s28, s22
	s_mul_i32 s0, s14, s26
	s_addc_u32 s34, s29, s23
	s_ashr_i32 s1, s0, 31
	s_lshl_b64 s[0:1], s[0:1], 2
	s_add_u32 s15, s2, s0
	s_mov_b32 s27, 0
	s_addc_u32 s14, s3, s1
	s_lshl_b64 s[8:9], s[26:27], 2
	s_add_u32 s15, s15, s8
	v_writelane_b32 v54, s15, 8
	s_addc_u32 s14, s14, s9
	v_writelane_b32 v54, s14, 9
	s_not_b32 s19, s18
	s_lshl_b32 s15, 1, s18
	s_lshl_b32 s14, 2, s18
	s_add_u32 s4, s4, 0x50
	s_addc_u32 s5, s5, 0
	v_writelane_b32 v54, s4, 10
	s_mul_i32 s30, s14, s6
	s_cmp_gt_i32 s15, 1
	v_writelane_b32 v54, s5, 11
	s_cselect_b64 s[4:5], -1, 0
	s_ashr_i32 s31, s30, 31
	v_writelane_b32 v54, s4, 12
	s_cmp_gt_i32 s14, 1
	v_writelane_b32 v54, s5, 13
	s_cselect_b64 s[4:5], -1, 0
	v_writelane_b32 v54, s4, 14
	v_writelane_b32 v54, s5, 15
	s_add_u32 s4, s22, s12
	s_addc_u32 s5, s23, s13
	s_add_u32 s17, s10, s4
	s_addc_u32 s15, s11, s5
	;; [unrolled: 2-line block ×3, first 2 shown]
	s_lshl_b64 s[38:39], s[30:31], 2
	s_add_u32 s4, s4, s38
	v_writelane_b32 v54, s17, 16
	s_addc_u32 s5, s5, s39
	v_writelane_b32 v54, s15, 17
	s_mov_b32 s26, s30
	s_add_u32 s4, s10, s4
	v_writelane_b32 v54, s26, 18
	s_addc_u32 s5, s11, s5
	v_writelane_b32 v54, s27, 19
	s_add_u32 s4, s4, 12
	v_writelane_b32 v54, s4, 20
	s_addc_u32 s4, s5, 0
	v_writelane_b32 v54, s4, 21
	s_add_i32 s4, s14, -1
	s_mul_i32 s5, s20, 12
	v_writelane_b32 v54, s4, 22
	s_mul_hi_i32 s4, s20, 12
	s_add_u32 s5, s5, s12
	s_addc_u32 s4, s4, s13
	s_add_u32 s5, s10, s5
	s_addc_u32 s4, s11, s4
	s_add_u32 s5, s5, 8
	v_writelane_b32 v54, s5, 23
	s_addc_u32 s4, s4, 0
	v_writelane_b32 v54, s4, 24
	s_lshl_b64 s[4:5], s[20:21], 4
	s_add_u32 s4, s4, s12
	s_addc_u32 s5, s5, s13
	s_add_u32 s4, s10, s4
	v_writelane_b32 v54, s4, 25
	s_addc_u32 s4, s11, s5
	v_writelane_b32 v54, s4, 26
	v_writelane_b32 v54, s28, 27
	s_add_u32 s4, s28, 4
	v_writelane_b32 v54, s4, 28
	s_addc_u32 s4, s29, 0
	s_add_u32 s0, s0, s8
	v_writelane_b32 v54, s29, 29
	s_addc_u32 s1, s1, s9
	v_cvt_f32_u32_e32 v25, v0
	v_writelane_b32 v54, s4, 30
	s_add_u32 s0, s2, s0
	v_mul_lo_u32 v28, v0, s20
	v_writelane_b32 v54, s0, 31
	s_addc_u32 s0, s3, s1
	v_writelane_b32 v54, s0, 32
	v_lshlrev_b32_e32 v24, 1, v0
	v_add_u32_e32 v26, s20, v0
	v_lshlrev_b32_e32 v27, 2, v0
	v_mov_b32_e32 v2, 0
	s_mov_b32 s37, 0xf800000
	s_mov_b32 s91, 0x4f800000
	v_mov_b32_e32 v29, 0x260
	s_mov_b32 s92, 0x40400000
	s_mov_b32 s93, 0x41200000
	v_writelane_b32 v54, s6, 33
	v_writelane_b32 v54, s19, 34
	s_branch .LBB7_4
.LBB7_2:                                ;   in Loop: Header=BB7_4 Depth=1
	s_or_b64 exec, exec, s[2:3]
	v_readlane_b32 s6, v54, 33
	v_readlane_b32 s19, v54, 34
.LBB7_3:                                ;   in Loop: Header=BB7_4 Depth=1
	s_add_i32 s16, s16, 8
	s_cmp_ge_i32 s16, s86
	s_cbranch_scc1 .LBB7_250
.LBB7_4:                                ; =>This Loop Header: Depth=1
                                        ;     Child Loop BB7_12 Depth 2
                                        ;     Child Loop BB7_19 Depth 2
	;; [unrolled: 1-line block ×4, first 2 shown]
                                        ;       Child Loop BB7_29 Depth 3
                                        ;     Child Loop BB7_34 Depth 2
                                        ;       Child Loop BB7_36 Depth 3
                                        ;     Child Loop BB7_40 Depth 2
                                        ;     Child Loop BB7_44 Depth 2
                                        ;       Child Loop BB7_49 Depth 3
                                        ;       Child Loop BB7_56 Depth 3
                                        ;       Child Loop BB7_60 Depth 3
                                        ;       Child Loop BB7_75 Depth 3
                                        ;       Child Loop BB7_78 Depth 3
                                        ;       Child Loop BB7_81 Depth 3
                                        ;       Child Loop BB7_85 Depth 3
                                        ;       Child Loop BB7_116 Depth 3
                                        ;       Child Loop BB7_120 Depth 3
                                        ;       Child Loop BB7_125 Depth 3
                                        ;         Child Loop BB7_162 Depth 4
                                        ;         Child Loop BB7_166 Depth 4
                                        ;       Child Loop BB7_172 Depth 3
                                        ;       Child Loop BB7_188 Depth 3
                                        ;       Child Loop BB7_192 Depth 3
                                        ;       Child Loop BB7_213 Depth 3
                                        ;       Child Loop BB7_218 Depth 3
                                        ;         Child Loop BB7_232 Depth 4
                                        ;     Child Loop BB7_242 Depth 2
                                        ;       Child Loop BB7_246 Depth 3
	s_ashr_i32 s17, s16, 31
	s_lshl_b64 s[0:1], s[16:17], 2
	s_add_u32 s0, s7, s0
	s_addc_u32 s1, s33, s1
	s_waitcnt vmcnt(0)
	s_barrier
	global_load_dwordx2 v[3:4], v2, s[0:1]
	s_mov_b32 s2, s27
	s_waitcnt vmcnt(0)
	v_readfirstlane_b32 s0, v3
	v_readfirstlane_b32 s1, v4
	s_sub_i32 s1, s1, s0
	s_cmp_lt_i32 s1, 3
	s_cbranch_scc1 .LBB7_9
; %bb.5:                                ;   in Loop: Header=BB7_4 Depth=1
	s_cmp_lt_u32 s1, 5
	s_mov_b32 s2, 1
	s_cbranch_scc1 .LBB7_9
; %bb.6:                                ;   in Loop: Header=BB7_4 Depth=1
	s_cmp_lt_u32 s1, 33
	s_mov_b32 s2, 2
	s_cbranch_scc1 .LBB7_9
; %bb.7:                                ;   in Loop: Header=BB7_4 Depth=1
	s_cmpk_lt_u32 s1, 0xe9
	s_mov_b32 s2, 4
	s_cbranch_scc1 .LBB7_9
; %bb.8:                                ;   in Loop: Header=BB7_4 Depth=1
	s_cmpk_lt_u32 s1, 0x128
	s_cselect_b32 s2, 5, 7
	s_cmpk_lt_u32 s1, 0x79b
	s_cselect_b32 s2, s2, 8
.LBB7_9:                                ;   in Loop: Header=BB7_4 Depth=1
	s_add_i32 s1, s2, s19
	s_lshl_b32 s2, 1, s1
	s_cmp_gt_i32 s1, -1
	s_cselect_b32 s1, s2, 0
	s_cmp_ge_i32 s6, s1
	s_cbranch_scc1 .LBB7_3
; %bb.10:                               ;   in Loop: Header=BB7_4 Depth=1
	v_readlane_b32 s2, v54, 10
	v_readlane_b32 s3, v54, 11
	s_ashr_i32 s1, s0, 31
	s_load_dword s2, s[2:3], 0xc
	s_lshl_b64 s[0:1], s[0:1], 2
	s_add_u32 s12, s24, s0
	s_addc_u32 s8, s25, s1
	v_readlane_b32 s3, v54, 2
	s_add_u32 s4, s3, s0
	v_readlane_b32 s3, v54, 3
	s_addc_u32 s5, s3, s1
	s_waitcnt lgkmcnt(0)
	s_bfe_u32 s3, s2, 0xf0001
	v_cvt_f32_u32_e32 v1, s3
	v_readlane_b32 s10, v54, 18
	v_mov_b32_e32 v7, s5
	v_mov_b32_e32 v9, s8
	v_rcp_iflag_f32_e32 v3, v1
	v_readlane_b32 s11, v54, 19
	v_mul_f32_e32 v3, v25, v3
	v_trunc_f32_e32 v3, v3
	v_cvt_u32_f32_e32 v4, v3
	v_mad_f32 v3, -v3, v1, v25
	v_cmp_ge_f32_e64 vcc, |v3|, v1
	v_addc_co_u32_e32 v1, vcc, 0, v4, vcc
	v_and_b32_e32 v1, 0x7fff, v1
	v_lshlrev_b32_e32 v1, s18, v1
	v_add_u32_e32 v3, s10, v1
	v_ashrrev_i32_e32 v4, 31, v3
	v_lshlrev_b64 v[4:5], 2, v[3:4]
	v_readlane_b32 s10, v54, 12
	v_add_co_u32_e32 v6, vcc, s4, v4
	v_addc_co_u32_e32 v7, vcc, v7, v5, vcc
	v_add_co_u32_e32 v8, vcc, s12, v4
	v_addc_co_u32_e32 v9, vcc, v9, v5, vcc
	global_load_dword v3, v[6:7], off offset:8
	global_load_dword v1, v[8:9], off offset:8
	v_readlane_b32 s11, v54, 13
	s_andn2_b64 vcc, exec, s[10:11]
	s_cbranch_vccnz .LBB7_13
; %bb.11:                               ;   in Loop: Header=BB7_4 Depth=1
	v_readlane_b32 s9, v54, 16
	s_add_u32 s9, s9, s0
	v_readlane_b32 s10, v54, 17
	s_addc_u32 s10, s10, s1
	v_mov_b32_e32 v6, s10
	v_add_co_u32_e32 v4, vcc, s9, v4
	v_addc_co_u32_e32 v5, vcc, v6, v5, vcc
	s_bfm_b32 s9, s18, 0
.LBB7_12:                               ;   Parent Loop BB7_4 Depth=1
                                        ; =>  This Inner Loop Header: Depth=2
	global_load_dword v6, v[4:5], off
	v_add_co_u32_e32 v4, vcc, 4, v4
	s_add_i32 s9, s9, -1
	v_addc_co_u32_e32 v5, vcc, 0, v5, vcc
	s_cmp_eq_u32 s9, 0
	s_waitcnt vmcnt(0)
	v_add_u32_e32 v1, v6, v1
	s_cbranch_scc0 .LBB7_12
.LBB7_13:                               ;   in Loop: Header=BB7_4 Depth=1
	s_and_b32 s17, s2, 0xffff
	v_cmp_le_u32_e32 vcc, s3, v0
	s_waitcnt vmcnt(1)
	v_ashrrev_i32_e32 v4, 31, v3
                                        ; implicit-def: $vgpr5_vgpr6
	s_and_saveexec_b64 s[2:3], vcc
	s_xor_b64 s[2:3], exec, s[2:3]
	s_cbranch_execz .LBB7_15
; %bb.14:                               ;   in Loop: Header=BB7_4 Depth=1
	v_lshlrev_b64 v[3:4], 2, v[3:4]
	v_readlane_b32 s9, v54, 1
	s_waitcnt vmcnt(0)
	v_mov_b32_e32 v1, s9
	v_readlane_b32 s9, v54, 0
	v_add_co_u32_e32 v3, vcc, s9, v3
	v_addc_co_u32_e32 v1, vcc, v1, v4, vcc
	v_add_co_u32_e32 v5, vcc, -4, v3
	v_addc_co_u32_e32 v6, vcc, -1, v1, vcc
                                        ; implicit-def: $vgpr1
                                        ; implicit-def: $vgpr3
.LBB7_15:                               ;   in Loop: Header=BB7_4 Depth=1
	s_andn2_saveexec_b64 s[2:3], s[2:3]
	s_cbranch_execz .LBB7_17
; %bb.16:                               ;   in Loop: Header=BB7_4 Depth=1
	s_waitcnt vmcnt(0)
	v_ashrrev_i32_e32 v5, 31, v1
	v_add_co_u32_e32 v3, vcc, v3, v1
	v_addc_co_u32_e32 v4, vcc, v4, v5, vcc
	v_lshlrev_b64 v[3:4], 2, v[3:4]
	v_readlane_b32 s9, v54, 1
	v_mov_b32_e32 v1, s9
	v_readlane_b32 s9, v54, 0
	v_add_co_u32_e32 v3, vcc, s9, v3
	v_addc_co_u32_e32 v1, vcc, v1, v4, vcc
	v_add_co_u32_e32 v5, vcc, -4, v3
	v_addc_co_u32_e32 v6, vcc, -1, v1, vcc
.LBB7_17:                               ;   in Loop: Header=BB7_4 Depth=1
	s_or_b64 exec, exec, s[2:3]
	s_add_u32 s2, s12, s38
	s_addc_u32 s3, s8, s39
	global_load_dword v1, v2, s[2:3] offset:8
	global_load_dword v7, v[5:6], off
	v_readlane_b32 s2, v54, 14
	v_readlane_b32 s3, v54, 15
	s_andn2_b64 vcc, exec, s[2:3]
	s_waitcnt vmcnt(1)
	v_readfirstlane_b32 s28, v1
	s_cbranch_vccnz .LBB7_20
; %bb.18:                               ;   in Loop: Header=BB7_4 Depth=1
	v_readlane_b32 s2, v54, 20
	s_add_u32 s0, s2, s0
	v_readlane_b32 s2, v54, 21
	s_addc_u32 s1, s2, s1
	v_readlane_b32 s2, v54, 22
.LBB7_19:                               ;   Parent Loop BB7_4 Depth=1
                                        ; =>  This Inner Loop Header: Depth=2
	global_load_dword v1, v2, s[0:1]
	s_waitcnt vmcnt(0)
	v_readfirstlane_b32 s3, v1
	s_add_i32 s28, s3, s28
	s_add_u32 s0, s0, 4
	s_addc_u32 s1, s1, 0
	s_add_i32 s2, s2, -1
	s_cmp_eq_u32 s2, 0
	s_cbranch_scc0 .LBB7_19
.LBB7_20:                               ;   in Loop: Header=BB7_4 Depth=1
	s_add_u32 s0, s4, s38
	s_addc_u32 s1, s5, s39
	global_load_dword v1, v2, s[0:1] offset:8
	s_mov_b32 s42, 0
	s_waitcnt vmcnt(0)
	v_readfirstlane_b32 s8, v1
	s_ashr_i32 s9, s8, 31
	s_cmp_gt_i32 s28, 0
	s_cselect_b64 s[40:41], -1, 0
	s_cmp_lt_i32 s28, 1
	s_cbranch_scc1 .LBB7_23
; %bb.21:                               ;   in Loop: Header=BB7_4 Depth=1
	s_lshl_b64 s[0:1], s[8:9], 2
	v_readlane_b32 s2, v54, 23
	s_add_u32 s0, s2, s0
	v_readlane_b32 s2, v54, 24
	s_addc_u32 s1, s2, s1
	s_mov_b32 s2, s28
.LBB7_22:                               ;   Parent Loop BB7_4 Depth=1
                                        ; =>  This Inner Loop Header: Depth=2
	global_load_dword v1, v2, s[0:1]
	s_waitcnt vmcnt(0)
	v_readfirstlane_b32 s3, v1
	s_cmp_eq_u32 s3, 1
	s_cselect_b64 s[4:5], -1, 0
	s_cmp_lg_u64 s[4:5], 0
	s_addc_u32 s42, s42, 0
	s_add_i32 s2, s2, -1
	s_add_u32 s0, s0, 4
	s_addc_u32 s1, s1, 0
	s_cmp_eq_u32 s2, 0
	s_cbranch_scc0 .LBB7_22
.LBB7_23:                               ;   in Loop: Header=BB7_4 Depth=1
	s_mul_i32 s0, s8, s20
	s_ashr_i32 s1, s0, 31
	s_cmp_eq_u32 s42, 0
	s_cbranch_scc1 .LBB7_31
; %bb.24:                               ;   in Loop: Header=BB7_4 Depth=1
	s_add_i32 s6, s42, -1
	s_lshl_b32 s19, s17, 1
	s_lshl_b64 s[2:3], s[8:9], 2
	v_readlane_b32 s4, v54, 25
	s_add_u32 s21, s4, s2
	v_readlane_b32 s4, v54, 26
	s_addc_u32 s26, s4, s3
	s_lshl_b32 s29, s17, 3
	v_readlane_b32 s4, v54, 28
	s_add_u32 s30, s4, s2
	v_readlane_b32 s2, v54, 30
	s_addc_u32 s31, s2, s3
	s_lshl_b64 s[2:3], s[0:1], 2
	v_readlane_b32 s4, v54, 31
	s_add_u32 s35, s4, s2
	v_readlane_b32 s2, v54, 32
	s_addc_u32 s43, s2, s3
	s_mov_b32 s44, 0
	s_mov_b64 s[2:3], 0
	s_branch .LBB7_26
.LBB7_25:                               ;   in Loop: Header=BB7_26 Depth=2
	s_or_b64 exec, exec, s[4:5]
	s_add_i32 s44, s44, 1
	s_xor_b64 s[2:3], s[2:3], -1
	s_cmp_eq_u32 s44, s42
	s_waitcnt vmcnt(0)
	s_barrier
	s_cbranch_scc1 .LBB7_31
.LBB7_26:                               ;   Parent Loop BB7_4 Depth=1
                                        ; =>  This Loop Header: Depth=2
                                        ;       Child Loop BB7_29 Depth 3
	v_and_or_b32 v1, s44, 1, v24
	v_cmp_gt_i32_e32 vcc, s6, v1
	s_and_saveexec_b64 s[4:5], vcc
	s_cbranch_execz .LBB7_25
; %bb.27:                               ;   in Loop: Header=BB7_26 Depth=2
	v_cndmask_b32_e64 v3, 0, 1, s[2:3]
	v_add_lshl_u32 v3, v24, v3, 2
	v_mov_b32_e32 v4, s26
	v_add_co_u32_e32 v8, vcc, s21, v3
	v_addc_co_u32_e32 v9, vcc, 0, v4, vcc
	v_mov_b32_e32 v4, s31
	v_add_co_u32_e32 v10, vcc, s30, v3
	v_addc_co_u32_e32 v11, vcc, 0, v4, vcc
	;; [unrolled: 3-line block ×3, first 2 shown]
	s_mov_b64 s[10:11], 0
	s_mov_b64 s[12:13], 0
	s_branch .LBB7_29
.LBB7_28:                               ;   in Loop: Header=BB7_29 Depth=3
	s_or_b64 exec, exec, s[14:15]
	v_add_u32_e32 v1, s19, v1
	s_add_u32 s12, s12, s29
	s_addc_u32 s13, s13, 0
	v_cmp_le_i32_e32 vcc, s6, v1
	s_or_b64 s[10:11], vcc, s[10:11]
	s_andn2_b64 exec, exec, s[10:11]
	s_cbranch_execz .LBB7_25
.LBB7_29:                               ;   Parent Loop BB7_4 Depth=1
                                        ;     Parent Loop BB7_26 Depth=2
                                        ; =>    This Inner Loop Header: Depth=3
	v_mov_b32_e32 v4, s13
	v_add_co_u32_e32 v3, vcc, s12, v12
	v_addc_co_u32_e32 v4, vcc, v13, v4, vcc
	global_load_dwordx2 v[5:6], v[3:4], off
	s_waitcnt vmcnt(0)
	v_cmp_gt_f32_e32 vcc, v5, v6
	s_and_saveexec_b64 s[14:15], vcc
	s_cbranch_execz .LBB7_28
; %bb.30:                               ;   in Loop: Header=BB7_29 Depth=3
	v_mov_b32_e32 v14, v6
	v_mov_b32_e32 v15, v5
	global_store_dwordx2 v[3:4], v[14:15], off
	v_mov_b32_e32 v15, s13
	v_add_co_u32_e32 v3, vcc, s12, v10
	v_addc_co_u32_e32 v4, vcc, v11, v15, vcc
	v_add_co_u32_e32 v14, vcc, s12, v8
	global_load_dwordx2 v[5:6], v[3:4], off offset:-4
	v_addc_co_u32_e32 v15, vcc, v9, v15, vcc
	global_load_dwordx2 v[16:17], v[14:15], off offset:8
	s_waitcnt vmcnt(1)
	v_mov_b32_e32 v18, v6
	v_mov_b32_e32 v19, v5
	s_waitcnt vmcnt(0)
	v_mov_b32_e32 v5, v17
	v_mov_b32_e32 v6, v16
	global_store_dwordx2 v[3:4], v[18:19], off offset:-4
	global_store_dwordx2 v[14:15], v[5:6], off offset:8
	s_branch .LBB7_28
.LBB7_31:                               ;   in Loop: Header=BB7_4 Depth=1
	s_lshl_b64 s[10:11], s[0:1], 2
	v_readlane_b32 s0, v54, 8
	s_add_u32 s29, s0, s10
	v_readlane_b32 s0, v54, 9
	s_addc_u32 s31, s0, s11
	v_cmp_gt_u32_e64 s[0:1], s42, v0
	s_and_saveexec_b64 s[4:5], s[0:1]
	s_cbranch_execz .LBB7_38
; %bb.32:                               ;   in Loop: Header=BB7_4 Depth=1
	s_mul_i32 s6, s28, s20
	s_cmp_lt_i32 s20, s6
	v_readlane_b32 s2, v54, 31
	s_cselect_b64 s[12:13], -1, 0
	s_add_u32 s19, s2, s10
	v_readlane_b32 s2, v54, 32
	s_addc_u32 s21, s2, s11
	s_mov_b64 s[14:15], 0
	v_mov_b32_e32 v3, v26
	v_mov_b32_e32 v1, v0
	s_branch .LBB7_34
.LBB7_33:                               ;   in Loop: Header=BB7_34 Depth=2
	v_add_u32_e32 v1, s17, v1
	v_cmp_le_u32_e32 vcc, s42, v1
	s_or_b64 s[14:15], vcc, s[14:15]
	v_add_u32_e32 v3, s17, v3
	s_andn2_b64 exec, exec, s[14:15]
	s_cbranch_execz .LBB7_38
.LBB7_34:                               ;   Parent Loop BB7_4 Depth=1
                                        ; =>  This Loop Header: Depth=2
                                        ;       Child Loop BB7_36 Depth 3
	s_andn2_b64 vcc, exec, s[12:13]
	s_cbranch_vccnz .LBB7_33
; %bb.35:                               ;   in Loop: Header=BB7_34 Depth=2
	v_lshlrev_b64 v[4:5], 2, v[1:2]
	v_mov_b32_e32 v6, s31
	v_add_co_u32_e32 v4, vcc, s29, v4
	v_addc_co_u32_e32 v5, vcc, v6, v5, vcc
	global_load_dword v6, v[4:5], off
	v_ashrrev_i32_e32 v4, 31, v3
	v_lshlrev_b64 v[4:5], 2, v[3:4]
	v_mov_b32_e32 v8, s21
	v_add_co_u32_e32 v4, vcc, s19, v4
	v_addc_co_u32_e32 v5, vcc, v8, v5, vcc
	v_add_u32_e32 v8, s6, v1
	v_add_u32_e32 v9, s20, v1
	s_mov_b64 s[44:45], 0
	s_waitcnt vmcnt(0)
.LBB7_36:                               ;   Parent Loop BB7_4 Depth=1
                                        ;     Parent Loop BB7_34 Depth=2
                                        ; =>    This Inner Loop Header: Depth=3
	v_add_u32_e32 v9, s20, v9
	global_store_dword v[4:5], v6, off
	v_mov_b32_e32 v10, s23
	v_add_co_u32_e32 v4, vcc, s22, v4
	v_cmp_ge_i32_e64 s[2:3], v9, v8
	s_or_b64 s[44:45], s[2:3], s[44:45]
	v_addc_co_u32_e32 v5, vcc, v5, v10, vcc
	s_andn2_b64 exec, exec, s[44:45]
	s_cbranch_execnz .LBB7_36
; %bb.37:                               ;   in Loop: Header=BB7_34 Depth=2
	s_or_b64 exec, exec, s[44:45]
	s_branch .LBB7_33
.LBB7_38:                               ;   in Loop: Header=BB7_4 Depth=1
	s_or_b64 exec, exec, s[4:5]
	v_cmp_gt_i32_e32 vcc, s28, v0
	s_and_saveexec_b64 s[12:13], vcc
	s_cbranch_execz .LBB7_41
; %bb.39:                               ;   in Loop: Header=BB7_4 Depth=1
	s_lshl_b64 s[2:3], s[8:9], 2
	v_mov_b32_e32 v3, s3
	v_add_co_u32_e64 v1, s[2:3], s2, v27
	v_addc_co_u32_e64 v3, s[2:3], 0, v3, s[2:3]
	s_lshl_b32 s6, s17, 2
	s_mov_b64 s[14:15], 0
	v_mov_b32_e32 v4, v0
.LBB7_40:                               ;   Parent Loop BB7_4 Depth=1
                                        ; =>  This Inner Loop Header: Depth=2
	v_mov_b32_e32 v6, s89
	v_add_co_u32_e64 v5, s[2:3], s88, v1
	v_addc_co_u32_e64 v6, s[2:3], v6, v3, s[2:3]
	global_load_dword v8, v[5:6], off
	v_mov_b32_e32 v6, s34
	v_add_co_u32_e64 v5, s[2:3], s90, v1
	v_add_co_u32_e64 v1, s[4:5], s6, v1
	v_add_u32_e32 v4, s17, v4
	v_addc_co_u32_e64 v6, s[2:3], v6, v3, s[2:3]
	v_addc_co_u32_e64 v3, s[2:3], 0, v3, s[4:5]
	v_cmp_le_i32_e64 s[2:3], s28, v4
	s_or_b64 s[14:15], s[2:3], s[14:15]
	s_waitcnt vmcnt(0)
	global_store_dword v[5:6], v8, off
	s_andn2_b64 exec, exec, s[14:15]
	s_cbranch_execnz .LBB7_40
.LBB7_41:                               ;   in Loop: Header=BB7_4 Depth=1
	s_or_b64 exec, exec, s[12:13]
	s_lshl_b64 s[46:47], s[8:9], 2
	v_readlane_b32 s2, v54, 27
	s_add_u32 s44, s2, s46
	v_readlane_b32 s2, v54, 29
	s_addc_u32 s45, s2, s47
	s_waitcnt vmcnt(0)
	s_barrier
	s_and_saveexec_b64 s[48:49], vcc
	s_cbranch_execz .LBB7_238
; %bb.42:                               ;   in Loop: Header=BB7_4 Depth=1
	v_add_f32_e32 v1, v7, v7
	v_cmp_gt_f32_e64 s[2:3], 0, v1
	v_cndmask_b32_e64 v30, v1, -v1, s[2:3]
	v_div_scale_f32 v1, s[4:5], v30, v30, 1.0
	v_div_scale_f32 v3, vcc, 1.0, v30, 1.0
	s_add_u32 s35, s90, s46
	s_addc_u32 s30, s34, s47
	v_readlane_b32 s4, v54, 4
	s_add_u32 s94, s4, s46
	v_readlane_b32 s4, v54, 6
	s_addc_u32 s95, s4, s47
	s_cmp_lt_i32 s42, 1
	s_cselect_b64 s[50:51], -1, 0
	s_add_i32 s52, s42, -1
	s_add_i32 s19, s42, -2
	s_cmp_gt_u32 s42, 2
	s_cselect_b64 s[54:55], -1, 0
	v_rcp_f32_e32 v4, v1
	s_ashr_i32 s43, s42, 31
	s_lshl_b64 s[56:57], s[42:43], 2
	s_add_u32 s58, s44, s56
	v_fma_f32 v5, -v1, v4, 1.0
	v_fmac_f32_e32 v4, v5, v4
	v_mul_f32_e32 v5, v3, v4
	v_fma_f32 v6, -v1, v5, v3
	v_fmac_f32_e32 v5, v6, v4
	v_fma_f32 v1, -v1, v5, v3
	v_div_fmas_f32 v1, v1, v4, v5
	s_addc_u32 s59, s45, s57
	s_cmp_gt_u32 s42, 1
	v_readlane_b32 s9, v54, 31
	s_cselect_b64 s[60:61], -1, 0
	s_add_u32 s43, s9, s10
	v_readlane_b32 s12, v54, 32
	s_addc_u32 s21, s12, s11
	s_ashr_i32 s53, s52, 31
	s_lshl_b64 s[4:5], s[52:53], 2
	s_add_u32 s6, s10, s4
	s_addc_u32 s8, s11, s5
	s_add_u32 s53, s9, s6
	s_addc_u32 s6, s12, s8
	s_add_u32 s4, s46, s4
	s_addc_u32 s5, s47, s5
	v_readlane_b32 s8, v54, 27
	s_add_u32 s62, s8, s4
	v_div_fixup_f32 v32, v1, v30, 1.0
	v_readlane_b32 s4, v54, 29
	v_mul_f32_e32 v31, 0.5, v30
	v_add_f32_e32 v33, v32, v32
	s_addc_u32 s63, s4, s5
	s_mov_b64 s[64:65], 0
	v_mov_b32_e32 v3, v28
	v_mov_b32_e32 v1, v0
	s_branch .LBB7_44
.LBB7_43:                               ;   in Loop: Header=BB7_44 Depth=2
	s_or_b64 exec, exec, s[66:67]
	v_add_u32_e32 v1, s17, v1
	v_cmp_le_i32_e32 vcc, s28, v1
	s_mul_i32 s4, s20, s17
	s_or_b64 s[64:65], vcc, s[64:65]
	v_add_u32_e32 v3, s4, v3
	s_andn2_b64 exec, exec, s[64:65]
	s_cbranch_execz .LBB7_238
.LBB7_44:                               ;   Parent Loop BB7_4 Depth=1
                                        ; =>  This Loop Header: Depth=2
                                        ;       Child Loop BB7_49 Depth 3
                                        ;       Child Loop BB7_56 Depth 3
	;; [unrolled: 1-line block ×10, first 2 shown]
                                        ;         Child Loop BB7_162 Depth 4
                                        ;         Child Loop BB7_166 Depth 4
                                        ;       Child Loop BB7_172 Depth 3
                                        ;       Child Loop BB7_188 Depth 3
	;; [unrolled: 1-line block ×5, first 2 shown]
                                        ;         Child Loop BB7_232 Depth 4
	v_lshlrev_b64 v[5:6], 2, v[1:2]
	v_mov_b32_e32 v4, s95
	v_add_co_u32_e32 v7, vcc, s94, v5
	v_addc_co_u32_e32 v8, vcc, v4, v6, vcc
	global_load_dword v4, v[7:8], off offset:8
	s_waitcnt vmcnt(0)
	v_cmp_eq_u32_e32 vcc, 1, v4
	s_and_saveexec_b64 s[66:67], vcc
	s_cbranch_execz .LBB7_43
; %bb.45:                               ;   in Loop: Header=BB7_44 Depth=2
	v_mul_lo_u32 v4, v1, s20
	s_andn2_b64 vcc, exec, s[50:51]
	s_mov_b64 s[4:5], -1
                                        ; implicit-def: $vgpr9
	s_cbranch_vccnz .LBB7_47
; %bb.46:                               ;   in Loop: Header=BB7_44 Depth=2
	v_mul_lo_u32 v9, v1, s20
	s_mov_b64 s[4:5], 0
.LBB7_47:                               ;   in Loop: Header=BB7_44 Depth=2
	v_mov_b32_e32 v7, s30
	v_add_co_u32_e32 v5, vcc, s35, v5
	v_addc_co_u32_e32 v6, vcc, v7, v6, vcc
	s_andn2_b64 vcc, exec, s[4:5]
	v_mov_b32_e32 v14, 0
	s_cbranch_vccnz .LBB7_51
; %bb.48:                               ;   in Loop: Header=BB7_44 Depth=2
	global_load_dword v7, v[5:6], off
	v_mov_b32_e32 v14, 0
	s_mov_b64 s[8:9], 0
	v_mov_b32_e32 v8, s42
	s_waitcnt vmcnt(0)
	v_cndmask_b32_e64 v7, v7, -v7, s[2:3]
.LBB7_49:                               ;   Parent Loop BB7_4 Depth=1
                                        ;     Parent Loop BB7_44 Depth=2
                                        ; =>    This Inner Loop Header: Depth=3
	v_lshrrev_b32_e32 v11, 1, v8
	v_add_u32_e32 v13, v14, v11
	v_add_u32_e32 v9, v13, v4
	v_ashrrev_i32_e32 v10, 31, v9
	v_lshlrev_b64 v[9:10], 2, v[9:10]
	v_mov_b32_e32 v12, s31
	v_add_co_u32_e32 v9, vcc, s29, v9
	v_addc_co_u32_e32 v10, vcc, v12, v10, vcc
	global_load_dword v9, v[9:10], off
	v_xad_u32 v8, v11, -1, v8
	v_add_u32_e32 v10, 1, v13
	s_waitcnt vmcnt(0)
	v_cmp_lt_f32_e32 vcc, v9, v7
	v_cndmask_b32_e32 v8, v11, v8, vcc
	v_cmp_gt_i32_e64 s[4:5], 1, v8
	s_or_b64 s[8:9], s[4:5], s[8:9]
	v_cndmask_b32_e32 v14, v14, v10, vcc
	s_andn2_b64 exec, exec, s[8:9]
	s_cbranch_execnz .LBB7_49
; %bb.50:                               ;   in Loop: Header=BB7_44 Depth=2
	s_or_b64 exec, exec, s[8:9]
	v_mov_b32_e32 v9, v4
.LBB7_51:                               ;   in Loop: Header=BB7_44 Depth=2
	v_ashrrev_i32_e32 v4, 31, v3
	v_lshlrev_b64 v[18:19], 2, v[3:4]
	v_ashrrev_i32_e32 v10, 31, v9
	v_lshlrev_b64 v[9:10], 2, v[9:10]
	v_mov_b32_e32 v4, s21
	v_add_co_u32_e32 v7, vcc, s43, v18
	v_addc_co_u32_e32 v8, vcc, v4, v19, vcc
	v_mov_b32_e32 v4, s31
	v_add_co_u32_e64 v36, s[4:5], s29, v9
	v_cmp_ne_u32_e32 vcc, s52, v14
	v_addc_co_u32_e64 v37, s[4:5], v4, v10, s[4:5]
                                        ; implicit-def: $vgpr35
	s_and_saveexec_b64 s[4:5], vcc
	s_xor_b64 s[68:69], exec, s[4:5]
	s_cbranch_execnz .LBB7_54
; %bb.52:                               ;   in Loop: Header=BB7_44 Depth=2
	s_andn2_saveexec_b64 s[14:15], s[68:69]
	s_cbranch_execnz .LBB7_170
.LBB7_53:                               ;   in Loop: Header=BB7_44 Depth=2
	s_or_b64 exec, exec, s[14:15]
	global_store_dword v[5:6], v35, off
	s_and_b64 exec, exec, s[2:3]
	s_cbranch_execz .LBB7_43
	s_branch .LBB7_237
.LBB7_54:                               ;   in Loop: Header=BB7_44 Depth=2
	v_mov_b32_e32 v15, v2
	v_lshlrev_b64 v[11:12], 2, v[14:15]
	v_mov_b32_e32 v17, 0
	v_add_co_u32_e32 v9, vcc, v36, v11
	v_addc_co_u32_e32 v10, vcc, v37, v12, vcc
	global_load_dwordx2 v[20:21], v[9:10], off
	v_cmp_ne_u32_e32 vcc, 0, v14
	s_waitcnt vmcnt(0)
	v_add_f32_e32 v13, v20, v21
	v_mov_b32_e32 v4, v21
	v_mul_f32_e32 v22, 0.5, v13
	s_and_saveexec_b64 s[4:5], vcc
	s_cbranch_execz .LBB7_58
; %bb.55:                               ;   in Loop: Header=BB7_44 Depth=2
	v_mov_b32_e32 v16, v8
	v_mov_b32_e32 v17, 0
	s_mov_b64 s[8:9], 0
	s_mov_b64 s[10:11], s[44:45]
	v_mov_b32_e32 v15, v7
	v_mov_b32_e32 v13, v14
.LBB7_56:                               ;   Parent Loop BB7_4 Depth=1
                                        ;     Parent Loop BB7_44 Depth=2
                                        ; =>    This Inner Loop Header: Depth=3
	global_load_dword v23, v[15:16], off
	global_load_dword v34, v2, s[10:11]
	v_add_u32_e32 v13, -1, v13
	s_add_u32 s10, s10, 4
	s_addc_u32 s11, s11, 0
	s_waitcnt vmcnt(1)
	v_sub_f32_e32 v23, v23, v22
	s_waitcnt vmcnt(0)
	v_div_scale_f32 v35, s[12:13], v23, v23, v34
	v_div_scale_f32 v38, vcc, v34, v23, v34
	v_rcp_f32_e32 v39, v35
	v_fma_f32 v40, -v35, v39, 1.0
	v_fmac_f32_e32 v39, v40, v39
	v_mul_f32_e32 v40, v38, v39
	v_fma_f32 v41, -v35, v40, v38
	v_fmac_f32_e32 v40, v41, v39
	v_fma_f32 v35, -v35, v40, v38
	v_div_fmas_f32 v35, v35, v39, v40
	v_add_co_u32_e32 v15, vcc, 4, v15
	v_addc_co_u32_e32 v16, vcc, 0, v16, vcc
	v_cmp_eq_u32_e32 vcc, 0, v13
	s_or_b64 s[8:9], vcc, s[8:9]
	v_div_fixup_f32 v23, v35, v23, v34
	v_fmac_f32_e32 v17, v34, v23
	s_andn2_b64 exec, exec, s[8:9]
	s_cbranch_execnz .LBB7_56
; %bb.57:                               ;   in Loop: Header=BB7_44 Depth=2
	s_or_b64 exec, exec, s[8:9]
.LBB7_58:                               ;   in Loop: Header=BB7_44 Depth=2
	s_or_b64 exec, exec, s[4:5]
	v_add_u32_e32 v13, 1, v14
	v_cmp_gt_i32_e32 vcc, s52, v13
	v_mov_b32_e32 v15, 0
	s_and_saveexec_b64 s[4:5], vcc
	s_cbranch_execz .LBB7_62
; %bb.59:                               ;   in Loop: Header=BB7_44 Depth=2
	v_mov_b32_e32 v15, 0
	s_mov_b64 s[8:9], 0
	s_mov_b32 s26, s52
.LBB7_60:                               ;   Parent Loop BB7_4 Depth=1
                                        ;     Parent Loop BB7_44 Depth=2
                                        ; =>    This Inner Loop Header: Depth=3
	s_lshl_b64 s[10:11], s[26:27], 2
	v_mov_b32_e32 v16, s11
	v_add_co_u32_e32 v34, vcc, s10, v36
	s_add_u32 s12, s44, s10
	v_addc_co_u32_e32 v35, vcc, v37, v16, vcc
	s_addc_u32 s13, s45, s11
	global_load_dword v16, v[34:35], off
	global_load_dword v23, v2, s[12:13]
	s_add_i32 s26, s26, -1
	s_waitcnt vmcnt(1)
	v_sub_f32_e32 v16, v16, v22
	s_waitcnt vmcnt(0)
	v_div_scale_f32 v34, s[10:11], v16, v16, v23
	v_div_scale_f32 v35, vcc, v23, v16, v23
	v_rcp_f32_e32 v38, v34
	v_fma_f32 v39, -v34, v38, 1.0
	v_fmac_f32_e32 v38, v39, v38
	v_mul_f32_e32 v39, v35, v38
	v_fma_f32 v40, -v34, v39, v35
	v_fmac_f32_e32 v39, v40, v38
	v_fma_f32 v34, -v34, v39, v35
	v_div_fmas_f32 v34, v34, v38, v39
	v_cmp_le_u32_e32 vcc, s26, v13
	s_or_b64 s[8:9], vcc, s[8:9]
	v_div_fixup_f32 v16, v34, v16, v23
	v_fmac_f32_e32 v15, v23, v16
	s_andn2_b64 exec, exec, s[8:9]
	s_cbranch_execnz .LBB7_60
; %bb.61:                               ;   in Loop: Header=BB7_44 Depth=2
	s_or_b64 exec, exec, s[8:9]
.LBB7_62:                               ;   in Loop: Header=BB7_44 Depth=2
	s_or_b64 exec, exec, s[4:5]
	v_mov_b32_e32 v16, s45
	v_add_co_u32_e32 v11, vcc, s44, v11
	v_addc_co_u32_e32 v12, vcc, v16, v12, vcc
	global_load_dwordx2 v[22:23], v[11:12], off
	v_sub_f32_e32 v34, v21, v20
	v_add_f32_e32 v17, v32, v17
	v_add_f32_e32 v15, v17, v15
	s_waitcnt vmcnt(0)
	v_mul_f32_e32 v16, v22, v22
	v_fma_f32 v22, v23, v23, -v16
	v_add_f32_e32 v22, v22, v22
	v_div_scale_f32 v35, s[4:5], v34, v34, v22
	v_div_scale_f32 v38, vcc, v22, v34, v22
	v_mul_f32_e32 v17, v23, v23
	v_rcp_f32_e32 v39, v35
	v_fma_f32 v40, -v35, v39, 1.0
	v_fmac_f32_e32 v39, v40, v39
	v_mul_f32_e32 v40, v38, v39
	v_fma_f32 v41, -v35, v40, v38
	v_fmac_f32_e32 v40, v41, v39
	v_fma_f32 v35, -v35, v40, v38
	v_div_fmas_f32 v35, v35, v39, v40
                                        ; implicit-def: $vgpr38
                                        ; implicit-def: $vgpr39
	v_div_fixup_f32 v22, v35, v34, v22
	v_add_f32_e32 v22, v15, v22
	v_cmp_lt_f32_e64 s[4:5], 0, v22
	v_cmp_nlt_f32_e64 s[12:13], 0, v22
	v_mul_f32_e32 v22, v34, v15
                                        ; implicit-def: $vgpr35
	s_and_saveexec_b64 s[8:9], s[12:13]
	s_xor_b64 s[10:11], exec, s[8:9]
	s_cbranch_execz .LBB7_68
; %bb.63:                               ;   in Loop: Header=BB7_44 Depth=2
	v_sub_f32_e32 v14, v22, v16
	v_mul_f32_e32 v16, v34, v17
	v_sub_f32_e32 v14, v14, v17
	v_mul_f32_e32 v17, 4.0, v16
	v_mul_f32_e32 v17, v15, v17
	v_fmac_f32_e32 v17, v14, v14
	v_mul_f32_e64 v22, |v17|, s91
	v_cmp_lt_f32_e64 vcc, |v17|, s37
	v_cndmask_b32_e64 v17, |v17|, v22, vcc
	v_sqrt_f32_e32 v22, v17
                                        ; implicit-def: $vgpr38
	v_add_u32_e32 v23, -1, v22
	v_fma_f32 v35, -v23, v22, v17
	v_cmp_ge_f32_e64 s[8:9], 0, v35
	v_add_u32_e32 v35, 1, v22
	v_cndmask_b32_e64 v23, v22, v23, s[8:9]
	v_fma_f32 v22, -v35, v22, v17
	v_cmp_lt_f32_e64 s[8:9], 0, v22
	v_cndmask_b32_e64 v22, v23, v35, s[8:9]
	v_mul_f32_e32 v23, 0x37800000, v22
	v_cndmask_b32_e32 v22, v22, v23, vcc
	v_cmp_class_f32_e32 vcc, v17, v29
	v_cndmask_b32_e32 v17, v22, v17, vcc
	v_cmp_ngt_f32_e32 vcc, 0, v14
	s_and_saveexec_b64 s[8:9], vcc
	s_xor_b64 s[8:9], exec, s[8:9]
	s_cbranch_execz .LBB7_65
; %bb.64:                               ;   in Loop: Header=BB7_44 Depth=2
	v_add_f32_e32 v14, v14, v17
	v_add_f32_e32 v15, v15, v15
	v_div_scale_f32 v16, s[14:15], v15, v15, -v14
	v_div_scale_f32 v17, vcc, -v14, v15, -v14
	v_rcp_f32_e32 v22, v16
	v_fma_f32 v23, -v16, v22, 1.0
	v_fmac_f32_e32 v22, v23, v22
	v_mul_f32_e32 v23, v17, v22
	v_fma_f32 v35, -v16, v23, v17
	v_fmac_f32_e32 v23, v35, v22
	v_fma_f32 v16, -v16, v23, v17
	v_div_fmas_f32 v16, v16, v22, v23
                                        ; implicit-def: $vgpr17
	v_div_fixup_f32 v38, v16, v15, -v14
                                        ; implicit-def: $vgpr16
                                        ; implicit-def: $vgpr14
.LBB7_65:                               ;   in Loop: Header=BB7_44 Depth=2
	s_andn2_saveexec_b64 s[8:9], s[8:9]
	s_cbranch_execz .LBB7_67
; %bb.66:                               ;   in Loop: Header=BB7_44 Depth=2
	v_add_f32_e32 v15, v16, v16
	v_sub_f32_e32 v14, v14, v17
	v_div_scale_f32 v16, s[14:15], v14, v14, v15
	v_div_scale_f32 v17, vcc, v15, v14, v15
	v_rcp_f32_e32 v22, v16
	v_fma_f32 v23, -v16, v22, 1.0
	v_fmac_f32_e32 v22, v23, v22
	v_mul_f32_e32 v23, v17, v22
	v_fma_f32 v35, -v16, v23, v17
	v_fmac_f32_e32 v23, v35, v22
	v_fma_f32 v16, -v16, v23, v17
	v_div_fmas_f32 v16, v16, v22, v23
	v_div_fixup_f32 v38, v16, v14, v15
.LBB7_67:                               ;   in Loop: Header=BB7_44 Depth=2
	s_or_b64 exec, exec, s[8:9]
	v_mul_f32_e32 v39, -0.5, v34
	v_add_f32_e32 v35, v21, v38
                                        ; implicit-def: $vgpr22
                                        ; implicit-def: $vgpr16
                                        ; implicit-def: $vgpr17
                                        ; implicit-def: $vgpr15
                                        ; implicit-def: $vgpr14
.LBB7_68:                               ;   in Loop: Header=BB7_44 Depth=2
	s_or_saveexec_b64 s[10:11], s[10:11]
	v_mov_b32_e32 v40, 0
	s_xor_b64 exec, exec, s[10:11]
	s_cbranch_execz .LBB7_74
; %bb.69:                               ;   in Loop: Header=BB7_44 Depth=2
	v_mul_f32_e32 v13, v34, v16
	v_add_f32_e32 v4, v22, v16
	v_mul_f32_e32 v16, -4.0, v13
	v_add_f32_e32 v4, v4, v17
	v_mul_f32_e32 v16, v15, v16
	v_fmac_f32_e32 v16, v4, v4
	v_mul_f32_e64 v17, |v16|, s91
	v_cmp_lt_f32_e64 vcc, |v16|, s37
	v_cndmask_b32_e64 v16, |v16|, v17, vcc
	v_sqrt_f32_e32 v17, v16
                                        ; implicit-def: $vgpr38
	v_add_u32_e32 v22, -1, v17
	v_fma_f32 v23, -v22, v17, v16
	v_cmp_ge_f32_e64 s[8:9], 0, v23
	v_add_u32_e32 v23, 1, v17
	v_cndmask_b32_e64 v22, v17, v22, s[8:9]
	v_fma_f32 v17, -v23, v17, v16
	v_cmp_lt_f32_e64 s[8:9], 0, v17
	v_cndmask_b32_e64 v17, v22, v23, s[8:9]
	v_mul_f32_e32 v22, 0x37800000, v17
	v_cndmask_b32_e32 v17, v17, v22, vcc
	v_cmp_class_f32_e32 vcc, v16, v29
	v_cndmask_b32_e32 v16, v17, v16, vcc
	v_cmp_nlt_f32_e32 vcc, 0, v4
	s_and_saveexec_b64 s[8:9], vcc
	s_xor_b64 s[8:9], exec, s[8:9]
	s_cbranch_execz .LBB7_71
; %bb.70:                               ;   in Loop: Header=BB7_44 Depth=2
	v_sub_f32_e32 v4, v4, v16
	v_add_f32_e32 v13, v15, v15
	v_div_scale_f32 v15, s[14:15], v13, v13, v4
	v_div_scale_f32 v16, vcc, v4, v13, v4
	v_rcp_f32_e32 v17, v15
	v_fma_f32 v22, -v15, v17, 1.0
	v_fmac_f32_e32 v17, v22, v17
	v_mul_f32_e32 v22, v16, v17
	v_fma_f32 v23, -v15, v22, v16
	v_fmac_f32_e32 v22, v23, v17
	v_fma_f32 v15, -v15, v22, v16
	v_div_fmas_f32 v15, v15, v17, v22
                                        ; implicit-def: $vgpr16
	v_div_fixup_f32 v38, v15, v13, v4
                                        ; implicit-def: $vgpr13
                                        ; implicit-def: $vgpr4
.LBB7_71:                               ;   in Loop: Header=BB7_44 Depth=2
	s_andn2_saveexec_b64 s[8:9], s[8:9]
	s_cbranch_execz .LBB7_73
; %bb.72:                               ;   in Loop: Header=BB7_44 Depth=2
	v_add_f32_e32 v13, v13, v13
	v_add_f32_e32 v4, v4, v16
	v_div_scale_f32 v15, s[14:15], v4, v4, v13
	v_div_scale_f32 v16, vcc, v13, v4, v13
	v_rcp_f32_e32 v17, v15
	v_fma_f32 v22, -v15, v17, 1.0
	v_fmac_f32_e32 v17, v22, v17
	v_mul_f32_e32 v22, v16, v17
	v_fma_f32 v23, -v15, v22, v16
	v_fmac_f32_e32 v22, v23, v17
	v_fma_f32 v15, -v15, v22, v16
	v_div_fmas_f32 v15, v15, v17, v22
	v_div_fixup_f32 v38, v15, v4, v13
.LBB7_73:                               ;   in Loop: Header=BB7_44 Depth=2
	s_or_b64 exec, exec, s[8:9]
	v_mul_f32_e32 v40, 0.5, v34
	v_add_f32_e32 v35, v20, v38
	v_mov_b32_e32 v39, 0
	v_mov_b32_e32 v13, v14
	;; [unrolled: 1-line block ×3, first 2 shown]
.LBB7_74:                               ;   in Loop: Header=BB7_44 Depth=2
	s_or_b64 exec, exec, s[10:11]
	v_mov_b32_e32 v15, v8
	s_mov_b32 s10, -1
	s_mov_b64 s[8:9], 0
	v_mov_b32_e32 v14, v7
.LBB7_75:                               ;   Parent Loop BB7_4 Depth=1
                                        ;     Parent Loop BB7_44 Depth=2
                                        ; =>    This Inner Loop Header: Depth=3
	global_load_dword v16, v[14:15], off
	s_add_i32 s10, s10, 1
	v_cmp_eq_u32_e32 vcc, s10, v13
	s_or_b64 s[8:9], vcc, s[8:9]
	s_waitcnt vmcnt(0)
	v_sub_f32_e32 v16, v16, v4
	global_store_dword v[14:15], v16, off
	v_add_co_u32_e32 v14, vcc, 4, v14
	v_addc_co_u32_e32 v15, vcc, 0, v15, vcc
	s_andn2_b64 exec, exec, s[8:9]
	s_cbranch_execnz .LBB7_75
; %bb.76:                               ;   in Loop: Header=BB7_44 Depth=2
	s_or_b64 exec, exec, s[8:9]
	v_cmp_gt_i32_e64 s[8:9], s52, v13
	s_and_saveexec_b64 s[10:11], s[8:9]
	s_cbranch_execz .LBB7_79
; %bb.77:                               ;   in Loop: Header=BB7_44 Depth=2
	s_mov_b64 s[14:15], 0
	s_mov_b32 s26, s52
.LBB7_78:                               ;   Parent Loop BB7_4 Depth=1
                                        ;     Parent Loop BB7_44 Depth=2
                                        ; =>    This Inner Loop Header: Depth=3
	s_lshl_b64 s[70:71], s[26:27], 2
	v_mov_b32_e32 v15, s71
	v_add_co_u32_e32 v14, vcc, s70, v36
	v_addc_co_u32_e32 v15, vcc, v37, v15, vcc
	global_load_dword v16, v[14:15], off
	s_add_i32 s26, s26, -1
	v_cmp_le_u32_e32 vcc, s26, v13
	s_or_b64 s[14:15], vcc, s[14:15]
	s_waitcnt vmcnt(0)
	v_sub_f32_e32 v16, v16, v4
	global_store_dword v[14:15], v16, off
	s_andn2_b64 exec, exec, s[14:15]
	s_cbranch_execnz .LBB7_78
.LBB7_79:                               ;   in Loop: Header=BB7_44 Depth=2
	s_or_b64 exec, exec, s[10:11]
	v_mov_b32_e32 v14, v2
	v_lshlrev_b64 v[16:17], 2, v[13:14]
	v_cmp_ne_u32_e64 s[10:11], 0, v13
	v_add_co_u32_e32 v14, vcc, v36, v16
	v_addc_co_u32_e32 v15, vcc, v37, v17, vcc
	global_load_dword v23, v[14:15], off
	v_mov_b32_e32 v42, 0
	v_mov_b32_e32 v22, 0
	;; [unrolled: 1-line block ×3, first 2 shown]
	s_waitcnt vmcnt(0)
	v_sub_f32_e32 v23, v23, v38
	global_store_dword v[14:15], v23, off
	s_and_saveexec_b64 s[70:71], s[10:11]
	s_cbranch_execz .LBB7_83
; %bb.80:                               ;   in Loop: Header=BB7_44 Depth=2
	v_mov_b32_e32 v23, v8
	v_mov_b32_e32 v42, 0
	s_mov_b64 s[72:73], 0
	s_mov_b64 s[74:75], s[44:45]
	v_mov_b32_e32 v22, v7
	v_mov_b32_e32 v44, v13
	;; [unrolled: 1-line block ×4, first 2 shown]
.LBB7_81:                               ;   Parent Loop BB7_4 Depth=1
                                        ;     Parent Loop BB7_44 Depth=2
                                        ; =>    This Inner Loop Header: Depth=3
	global_load_dword v45, v[22:23], off
	v_add_u32_e32 v44, -1, v44
	s_waitcnt vmcnt(0)
	v_sub_f32_e32 v45, v45, v38
	global_store_dword v[22:23], v45, off
	global_load_dword v46, v2, s[74:75]
	s_add_u32 s74, s74, 4
	s_addc_u32 s75, s75, 0
	s_waitcnt vmcnt(0)
	v_div_scale_f32 v47, s[14:15], v45, v45, v46
	v_div_scale_f32 v48, vcc, v46, v45, v46
	v_add_co_u32_e64 v22, s[14:15], 4, v22
	v_addc_co_u32_e64 v23, s[14:15], 0, v23, s[14:15]
	v_rcp_f32_e32 v49, v47
	v_fma_f32 v50, -v47, v49, 1.0
	v_fmac_f32_e32 v49, v50, v49
	v_mul_f32_e32 v50, v48, v49
	v_fma_f32 v51, -v47, v50, v48
	v_fmac_f32_e32 v50, v51, v49
	v_fma_f32 v47, -v47, v50, v48
	v_div_fmas_f32 v47, v47, v49, v50
	v_cmp_eq_u32_e32 vcc, 0, v44
	s_or_b64 s[72:73], vcc, s[72:73]
	v_div_fixup_f32 v45, v47, v45, v46
	v_fmac_f32_e32 v43, v46, v45
	v_fmac_f32_e32 v42, v45, v45
	v_add_f32_e32 v41, v41, v43
	s_andn2_b64 exec, exec, s[72:73]
	s_cbranch_execnz .LBB7_81
; %bb.82:                               ;   in Loop: Header=BB7_44 Depth=2
	s_or_b64 exec, exec, s[72:73]
	v_and_b32_e32 v22, 0x7fffffff, v41
.LBB7_83:                               ;   in Loop: Header=BB7_44 Depth=2
	s_or_b64 exec, exec, s[70:71]
	v_mov_b32_e32 v23, 0
	v_mov_b32_e32 v44, 0
	s_and_saveexec_b64 s[14:15], s[8:9]
	s_cbranch_execz .LBB7_87
; %bb.84:                               ;   in Loop: Header=BB7_44 Depth=2
	v_mov_b32_e32 v23, 0
	s_mov_b64 s[70:71], 0
	s_mov_b32 s26, s52
	v_mov_b32_e32 v44, 0
.LBB7_85:                               ;   Parent Loop BB7_4 Depth=1
                                        ;     Parent Loop BB7_44 Depth=2
                                        ; =>    This Inner Loop Header: Depth=3
	s_lshl_b64 s[72:73], s[26:27], 2
	v_mov_b32_e32 v41, s73
	v_add_co_u32_e32 v45, vcc, s72, v36
	v_addc_co_u32_e32 v46, vcc, v37, v41, vcc
	global_load_dword v41, v[45:46], off
	s_add_u32 s72, s44, s72
	s_addc_u32 s73, s45, s73
	s_add_i32 s26, s26, -1
	s_waitcnt vmcnt(0)
	v_sub_f32_e32 v41, v41, v38
	global_store_dword v[45:46], v41, off
	global_load_dword v45, v2, s[72:73]
	s_waitcnt vmcnt(0)
	v_div_scale_f32 v46, s[72:73], v41, v41, v45
	v_div_scale_f32 v47, vcc, v45, v41, v45
	v_rcp_f32_e32 v48, v46
	v_fma_f32 v49, -v46, v48, 1.0
	v_fmac_f32_e32 v48, v49, v48
	v_mul_f32_e32 v49, v47, v48
	v_fma_f32 v50, -v46, v49, v47
	v_fmac_f32_e32 v49, v50, v48
	v_fma_f32 v46, -v46, v49, v47
	v_div_fmas_f32 v46, v46, v48, v49
	v_cmp_le_u32_e32 vcc, s26, v13
	s_or_b64 s[70:71], vcc, s[70:71]
	v_div_fixup_f32 v41, v46, v41, v45
	v_fmac_f32_e32 v44, v45, v41
	v_fmac_f32_e32 v23, v41, v41
	v_add_f32_e32 v22, v22, v44
	s_andn2_b64 exec, exec, s[70:71]
	s_cbranch_execnz .LBB7_85
; %bb.86:                               ;   in Loop: Header=BB7_44 Depth=2
	s_or_b64 exec, exec, s[70:71]
.LBB7_87:                               ;   in Loop: Header=BB7_44 Depth=2
	s_or_b64 exec, exec, s[14:15]
	v_mov_b32_e32 v41, s45
	v_add_co_u32_e32 v16, vcc, s44, v16
	v_addc_co_u32_e32 v17, vcc, v41, v17, vcc
	global_load_dword v41, v[14:15], off
	global_load_dword v46, v[16:17], off
	s_waitcnt vmcnt(0)
	v_div_scale_f32 v45, s[14:15], v41, v41, v46
	v_div_scale_f32 v47, vcc, v46, v41, v46
	v_rcp_f32_e32 v48, v45
	v_fma_f32 v49, -v45, v48, 1.0
	v_fmac_f32_e32 v48, v49, v48
	v_mul_f32_e32 v49, v47, v48
	v_fma_f32 v50, -v45, v49, v47
	v_fmac_f32_e32 v49, v50, v48
	v_fma_f32 v45, -v45, v49, v47
	v_div_fmas_f32 v47, v45, v48, v49
	v_add_f32_e32 v48, v32, v43
	v_add_f32_e32 v45, v42, v23
	v_sub_f32_e32 v23, v44, v43
	v_mov_b32_e32 v43, v33
	v_add_f32_e32 v42, v48, v44
	v_fmac_f32_e32 v43, 0x41000000, v23
	v_div_fixup_f32 v47, v47, v41, v46
	v_mul_f32_e32 v48, v46, v47
	v_fma_f32 v44, v47, v47, v45
	v_fma_f32 v23, |v48|, s92, v43
	v_fma_f32 v23, |v38|, v44, v23
	v_add_f32_e32 v22, v22, v23
	v_fmac_f32_e32 v42, v46, v47
	v_mul_f32_e32 v22, s87, v22
	v_cmp_nle_f32_e64 s[14:15], |v42|, v22
	s_and_saveexec_b64 s[70:71], s[14:15]
	s_cbranch_execz .LBB7_169
; %bb.88:                               ;   in Loop: Header=BB7_44 Depth=2
	global_load_dwordx2 v[22:23], v[9:10], off
                                        ; implicit-def: $vgpr46
	s_and_saveexec_b64 s[14:15], s[12:13]
	s_xor_b64 s[14:15], exec, s[14:15]
	s_cbranch_execz .LBB7_90
; %bb.89:                               ;   in Loop: Header=BB7_44 Depth=2
	global_load_dword v35, v[11:12], off offset:4
	s_waitcnt vmcnt(0)
	v_mul_f32_e32 v43, v34, v35
	v_mul_f32_e32 v35, v35, v43
	v_div_scale_f32 v43, s[72:73], v23, v23, v35
	v_div_scale_f32 v46, vcc, v35, v23, v35
	v_rcp_f32_e32 v47, v43
	v_fma_f32 v48, -v43, v47, 1.0
	v_fmac_f32_e32 v47, v48, v47
	v_mul_f32_e32 v48, v46, v47
	v_fma_f32 v49, -v43, v48, v46
	v_fmac_f32_e32 v48, v49, v47
	v_fma_f32 v43, -v43, v48, v46
	v_div_fmas_f32 v43, v43, v47, v48
	v_div_fixup_f32 v35, v43, v23, v35
	v_div_scale_f32 v43, s[72:73], v23, v23, v35
	v_div_scale_f32 v46, vcc, v35, v23, v35
	v_rcp_f32_e32 v47, v43
	v_fma_f32 v48, -v43, v47, 1.0
	v_fmac_f32_e32 v47, v48, v47
	v_mul_f32_e32 v48, v46, v47
	v_fma_f32 v49, -v43, v48, v46
	v_fmac_f32_e32 v48, v49, v47
	v_fma_f32 v43, -v43, v48, v46
	v_div_fmas_f32 v43, v43, v47, v48
	v_fma_f32 v46, -v44, v22, v42
	v_div_fixup_f32 v35, v43, v23, v35
	v_sub_f32_e32 v46, v46, v35
.LBB7_90:                               ;   in Loop: Header=BB7_44 Depth=2
	s_or_saveexec_b64 s[14:15], s[14:15]
	v_sub_f32_e32 v35, v20, v21
	s_xor_b64 exec, exec, s[14:15]
	s_cbranch_execz .LBB7_92
; %bb.91:                               ;   in Loop: Header=BB7_44 Depth=2
	global_load_dword v20, v[11:12], off
	s_waitcnt vmcnt(0)
	v_mul_f32_e32 v21, v35, v20
	v_mul_f32_e32 v20, v20, v21
	v_div_scale_f32 v21, s[72:73], v22, v22, v20
	v_div_scale_f32 v43, vcc, v20, v22, v20
	v_rcp_f32_e32 v46, v21
	v_fma_f32 v47, -v21, v46, 1.0
	v_fmac_f32_e32 v46, v47, v46
	v_mul_f32_e32 v47, v43, v46
	v_fma_f32 v48, -v21, v47, v43
	v_fmac_f32_e32 v47, v48, v46
	v_fma_f32 v21, -v21, v47, v43
	v_div_fmas_f32 v21, v21, v46, v47
	v_div_fixup_f32 v20, v21, v22, v20
	v_div_scale_f32 v21, s[72:73], v22, v22, v20
	v_div_scale_f32 v43, vcc, v20, v22, v20
	v_rcp_f32_e32 v46, v21
	v_fma_f32 v47, -v21, v46, 1.0
	v_fmac_f32_e32 v46, v47, v46
	v_mul_f32_e32 v47, v43, v46
	v_fma_f32 v48, -v21, v47, v43
	v_fmac_f32_e32 v47, v48, v46
	v_fma_f32 v21, -v21, v47, v43
	v_div_fmas_f32 v21, v21, v46, v47
	v_fma_f32 v43, -v44, v23, v42
	v_div_fixup_f32 v20, v21, v22, v20
	v_sub_f32_e32 v46, v43, v20
.LBB7_92:                               ;   in Loop: Header=BB7_44 Depth=2
	s_or_b64 exec, exec, s[14:15]
	s_waitcnt vmcnt(0)
	v_mul_f32_e32 v43, v22, v23
	v_add_f32_e32 v20, v22, v23
	v_mul_f32_e32 v21, v44, v43
	v_fma_f32 v21, v42, v20, -v21
	v_mul_f32_e32 v20, v42, v43
	v_cmp_neq_f32_e32 vcc, 0, v46
                                        ; implicit-def: $vgpr43
	s_and_saveexec_b64 s[14:15], vcc
	s_xor_b64 s[72:73], exec, s[14:15]
	s_cbranch_execz .LBB7_98
; %bb.93:                               ;   in Loop: Header=BB7_44 Depth=2
	v_mul_f32_e32 v22, -4.0, v20
	v_mul_f32_e32 v22, v22, v46
	v_fmac_f32_e32 v22, v21, v21
	v_mul_f32_e64 v23, |v22|, s91
	v_cmp_lt_f32_e64 vcc, |v22|, s37
	v_cndmask_b32_e64 v22, |v22|, v23, vcc
	v_sqrt_f32_e32 v23, v22
	v_add_u32_e32 v43, -1, v23
	v_add_u32_e32 v45, 1, v23
	v_fma_f32 v47, -v43, v23, v22
	v_fma_f32 v48, -v45, v23, v22
	v_cmp_ge_f32_e64 s[14:15], 0, v47
	v_cndmask_b32_e64 v23, v23, v43, s[14:15]
	v_cmp_lt_f32_e64 s[14:15], 0, v48
	v_cndmask_b32_e64 v23, v23, v45, s[14:15]
	v_mul_f32_e32 v43, 0x37800000, v23
	v_cndmask_b32_e32 v23, v23, v43, vcc
	v_cmp_class_f32_e32 vcc, v22, v29
	v_cndmask_b32_e32 v22, v23, v22, vcc
	v_cmp_ge_f32_e32 vcc, 0, v21
                                        ; implicit-def: $vgpr43
	s_and_saveexec_b64 s[14:15], vcc
	s_xor_b64 s[14:15], exec, s[14:15]
	s_cbranch_execz .LBB7_95
; %bb.94:                               ;   in Loop: Header=BB7_44 Depth=2
	v_sub_f32_e32 v20, v21, v22
	v_add_f32_e32 v21, v46, v46
	v_div_scale_f32 v22, s[74:75], v21, v21, v20
	v_div_scale_f32 v23, vcc, v20, v21, v20
	v_rcp_f32_e32 v43, v22
	v_fma_f32 v45, -v22, v43, 1.0
	v_fmac_f32_e32 v43, v45, v43
	v_mul_f32_e32 v45, v23, v43
	v_fma_f32 v46, -v22, v45, v23
	v_fmac_f32_e32 v45, v46, v43
	v_fma_f32 v22, -v22, v45, v23
	v_div_fmas_f32 v22, v22, v43, v45
	v_div_fixup_f32 v43, v22, v21, v20
                                        ; implicit-def: $vgpr20
                                        ; implicit-def: $vgpr21
                                        ; implicit-def: $vgpr22
.LBB7_95:                               ;   in Loop: Header=BB7_44 Depth=2
	s_andn2_saveexec_b64 s[14:15], s[14:15]
	s_cbranch_execz .LBB7_97
; %bb.96:                               ;   in Loop: Header=BB7_44 Depth=2
	v_add_f32_e32 v20, v20, v20
	v_add_f32_e32 v21, v21, v22
	v_div_scale_f32 v22, s[74:75], v21, v21, v20
	v_div_scale_f32 v23, vcc, v20, v21, v20
	v_rcp_f32_e32 v43, v22
	v_fma_f32 v45, -v22, v43, 1.0
	v_fmac_f32_e32 v43, v45, v43
	v_mul_f32_e32 v45, v23, v43
	v_fma_f32 v46, -v22, v45, v23
	v_fmac_f32_e32 v45, v46, v43
	v_fma_f32 v22, -v22, v45, v23
	v_div_fmas_f32 v22, v22, v43, v45
	v_div_fixup_f32 v43, v22, v21, v20
.LBB7_97:                               ;   in Loop: Header=BB7_44 Depth=2
	s_or_b64 exec, exec, s[14:15]
                                        ; implicit-def: $vgpr21
                                        ; implicit-def: $vgpr20
                                        ; implicit-def: $vgpr22_vgpr23
                                        ; implicit-def: $vgpr45
.LBB7_98:                               ;   in Loop: Header=BB7_44 Depth=2
	s_andn2_saveexec_b64 s[14:15], s[72:73]
	s_cbranch_execz .LBB7_106
; %bb.99:                               ;   in Loop: Header=BB7_44 Depth=2
	v_cmp_eq_f32_e32 vcc, 0, v21
	s_and_saveexec_b64 s[72:73], vcc
	s_cbranch_execz .LBB7_105
; %bb.100:                              ;   in Loop: Header=BB7_44 Depth=2
                                        ; implicit-def: $vgpr21
	s_and_saveexec_b64 s[74:75], s[12:13]
	s_xor_b64 s[74:75], exec, s[74:75]
	s_cbranch_execz .LBB7_102
; %bb.101:                              ;   in Loop: Header=BB7_44 Depth=2
	global_load_dword v21, v[11:12], off offset:4
	v_mul_f32_e32 v22, v22, v22
	s_waitcnt vmcnt(0)
	v_mul_f32_e32 v21, v21, v21
	v_fmac_f32_e32 v21, v45, v22
                                        ; implicit-def: $vgpr22_vgpr23
                                        ; implicit-def: $vgpr45
.LBB7_102:                              ;   in Loop: Header=BB7_44 Depth=2
	s_andn2_saveexec_b64 s[74:75], s[74:75]
	s_cbranch_execz .LBB7_104
; %bb.103:                              ;   in Loop: Header=BB7_44 Depth=2
	global_load_dword v21, v[11:12], off
	v_mul_f32_e32 v22, v23, v23
	s_waitcnt vmcnt(0)
	v_mul_f32_e32 v21, v21, v21
	v_fmac_f32_e32 v21, v45, v22
.LBB7_104:                              ;   in Loop: Header=BB7_44 Depth=2
	s_or_b64 exec, exec, s[74:75]
.LBB7_105:                              ;   in Loop: Header=BB7_44 Depth=2
	s_or_b64 exec, exec, s[72:73]
	v_div_scale_f32 v22, s[72:73], v21, v21, v20
	v_div_scale_f32 v23, vcc, v20, v21, v20
	v_rcp_f32_e32 v43, v22
	v_fma_f32 v45, -v22, v43, 1.0
	v_fmac_f32_e32 v43, v45, v43
	v_mul_f32_e32 v45, v23, v43
	v_fma_f32 v46, -v22, v45, v23
	v_fmac_f32_e32 v45, v46, v43
	v_fma_f32 v22, -v22, v45, v23
	v_div_fmas_f32 v22, v22, v43, v45
	v_div_fixup_f32 v43, v22, v21, v20
.LBB7_106:                              ;   in Loop: Header=BB7_44 Depth=2
	s_or_b64 exec, exec, s[14:15]
	v_mul_f32_e32 v20, v42, v43
	v_cmp_le_f32_e32 vcc, 0, v20
	s_and_saveexec_b64 s[14:15], vcc
	s_cbranch_execz .LBB7_108
; %bb.107:                              ;   in Loop: Header=BB7_44 Depth=2
	v_div_scale_f32 v20, s[72:73], v44, v44, -v42
	v_div_scale_f32 v21, vcc, -v42, v44, -v42
	v_rcp_f32_e32 v22, v20
	v_fma_f32 v23, -v20, v22, 1.0
	v_fmac_f32_e32 v22, v23, v22
	v_mul_f32_e32 v23, v21, v22
	v_fma_f32 v43, -v20, v23, v21
	v_fmac_f32_e32 v23, v43, v22
	v_fma_f32 v20, -v20, v23, v21
	v_div_fmas_f32 v20, v20, v22, v23
	v_div_fixup_f32 v43, v20, v44, -v42
.LBB7_108:                              ;   in Loop: Header=BB7_44 Depth=2
	s_or_b64 exec, exec, s[14:15]
	v_cmp_lt_f32_e32 vcc, v39, v38
	v_cndmask_b32_e32 v20, v39, v38, vcc
	v_cmp_nge_f32_e32 vcc, 0, v42
	v_cndmask_b32_e32 v22, v20, v39, vcc
	v_cmp_lt_f32_e32 vcc, 0, v42
	v_cmp_lt_f32_e64 s[14:15], v38, v40
	s_and_b64 vcc, vcc, s[14:15]
	v_cndmask_b32_e32 v23, v40, v38, vcc
	v_add_f32_e32 v20, v38, v43
	v_cmp_gt_f32_e32 vcc, v20, v23
	v_cmp_lt_f32_e64 s[14:15], v20, v22
	s_or_b64 s[72:73], vcc, s[14:15]
	s_and_saveexec_b64 s[14:15], s[72:73]
	s_cbranch_execz .LBB7_114
; %bb.109:                              ;   in Loop: Header=BB7_44 Depth=2
	v_cmp_ngt_f32_e32 vcc, 0, v42
                                        ; implicit-def: $vgpr43
	s_and_saveexec_b64 s[72:73], vcc
	s_xor_b64 s[72:73], exec, s[72:73]
; %bb.110:                              ;   in Loop: Header=BB7_44 Depth=2
	v_sub_f32_e32 v20, v22, v38
	v_mul_f32_e32 v43, 0.5, v20
; %bb.111:                              ;   in Loop: Header=BB7_44 Depth=2
	s_andn2_saveexec_b64 s[72:73], s[72:73]
; %bb.112:                              ;   in Loop: Header=BB7_44 Depth=2
	v_sub_f32_e32 v20, v23, v38
	v_mul_f32_e32 v43, 0.5, v20
; %bb.113:                              ;   in Loop: Header=BB7_44 Depth=2
	s_or_b64 exec, exec, s[72:73]
.LBB7_114:                              ;   in Loop: Header=BB7_44 Depth=2
	s_or_b64 exec, exec, s[14:15]
	v_sub_f32_e32 v20, v41, v43
	global_store_dword v[14:15], v20, off
	v_mov_b32_e32 v39, 0
	v_mov_b32_e32 v20, 0
	;; [unrolled: 1-line block ×3, first 2 shown]
	s_and_saveexec_b64 s[72:73], s[10:11]
	s_cbranch_execz .LBB7_118
; %bb.115:                              ;   in Loop: Header=BB7_44 Depth=2
	v_mov_b32_e32 v21, v8
	v_mov_b32_e32 v39, 0
	s_mov_b64 s[74:75], 0
	s_mov_b64 s[76:77], s[44:45]
	v_mov_b32_e32 v20, v7
	v_mov_b32_e32 v41, v13
	;; [unrolled: 1-line block ×4, first 2 shown]
.LBB7_116:                              ;   Parent Loop BB7_4 Depth=1
                                        ;     Parent Loop BB7_44 Depth=2
                                        ; =>    This Inner Loop Header: Depth=3
	global_load_dword v45, v[20:21], off
	v_add_u32_e32 v41, -1, v41
	s_waitcnt vmcnt(0)
	v_sub_f32_e32 v45, v45, v43
	global_store_dword v[20:21], v45, off
	global_load_dword v46, v2, s[76:77]
	s_add_u32 s76, s76, 4
	s_addc_u32 s77, s77, 0
	s_waitcnt vmcnt(0)
	v_div_scale_f32 v47, s[14:15], v45, v45, v46
	v_div_scale_f32 v48, vcc, v46, v45, v46
	v_add_co_u32_e64 v20, s[14:15], 4, v20
	v_addc_co_u32_e64 v21, s[14:15], 0, v21, s[14:15]
	v_rcp_f32_e32 v49, v47
	v_fma_f32 v50, -v47, v49, 1.0
	v_fmac_f32_e32 v49, v50, v49
	v_mul_f32_e32 v50, v48, v49
	v_fma_f32 v51, -v47, v50, v48
	v_fmac_f32_e32 v50, v51, v49
	v_fma_f32 v47, -v47, v50, v48
	v_div_fmas_f32 v47, v47, v49, v50
	v_cmp_eq_u32_e32 vcc, 0, v41
	s_or_b64 s[74:75], vcc, s[74:75]
	v_div_fixup_f32 v45, v47, v45, v46
	v_fmac_f32_e32 v44, v46, v45
	v_fmac_f32_e32 v39, v45, v45
	v_add_f32_e32 v40, v40, v44
	s_andn2_b64 exec, exec, s[74:75]
	s_cbranch_execnz .LBB7_116
; %bb.117:                              ;   in Loop: Header=BB7_44 Depth=2
	s_or_b64 exec, exec, s[74:75]
	v_and_b32_e32 v20, 0x7fffffff, v40
.LBB7_118:                              ;   in Loop: Header=BB7_44 Depth=2
	s_or_b64 exec, exec, s[72:73]
	v_mov_b32_e32 v41, 0
	v_mov_b32_e32 v21, 0
	s_and_saveexec_b64 s[14:15], s[8:9]
	s_cbranch_execz .LBB7_122
; %bb.119:                              ;   in Loop: Header=BB7_44 Depth=2
	v_mov_b32_e32 v41, 0
	s_mov_b64 s[72:73], 0
	s_mov_b32 s26, s52
	v_mov_b32_e32 v21, 0
.LBB7_120:                              ;   Parent Loop BB7_4 Depth=1
                                        ;     Parent Loop BB7_44 Depth=2
                                        ; =>    This Inner Loop Header: Depth=3
	s_lshl_b64 s[74:75], s[26:27], 2
	v_mov_b32_e32 v40, s75
	v_add_co_u32_e32 v45, vcc, s74, v36
	v_addc_co_u32_e32 v46, vcc, v37, v40, vcc
	global_load_dword v40, v[45:46], off
	s_add_u32 s74, s44, s74
	s_addc_u32 s75, s45, s75
	s_add_i32 s26, s26, -1
	s_waitcnt vmcnt(0)
	v_sub_f32_e32 v40, v40, v43
	global_store_dword v[45:46], v40, off
	global_load_dword v45, v2, s[74:75]
	s_waitcnt vmcnt(0)
	v_div_scale_f32 v46, s[74:75], v40, v40, v45
	v_div_scale_f32 v47, vcc, v45, v40, v45
	v_rcp_f32_e32 v48, v46
	v_fma_f32 v49, -v46, v48, 1.0
	v_fmac_f32_e32 v48, v49, v48
	v_mul_f32_e32 v49, v47, v48
	v_fma_f32 v50, -v46, v49, v47
	v_fmac_f32_e32 v49, v50, v48
	v_fma_f32 v46, -v46, v49, v47
	v_div_fmas_f32 v46, v46, v48, v49
	v_cmp_le_u32_e32 vcc, s26, v13
	s_or_b64 s[72:73], vcc, s[72:73]
	v_div_fixup_f32 v40, v46, v40, v45
	v_fmac_f32_e32 v21, v45, v40
	v_fmac_f32_e32 v41, v40, v40
	v_add_f32_e32 v20, v20, v21
	s_andn2_b64 exec, exec, s[72:73]
	s_cbranch_execnz .LBB7_120
; %bb.121:                              ;   in Loop: Header=BB7_44 Depth=2
	s_or_b64 exec, exec, s[72:73]
.LBB7_122:                              ;   in Loop: Header=BB7_44 Depth=2
	s_or_b64 exec, exec, s[14:15]
	global_load_dword v45, v[16:17], off
	global_load_dword v40, v[14:15], off
	v_and_b32_e32 v36, 0x7fffffff, v42
	v_div_scale_f32 v37, s[14:15], s93, s93, v36
	s_mov_b32 s26, 1
	s_mov_b64 s[72:73], 0
                                        ; implicit-def: $sgpr74_sgpr75
	v_rcp_f32_e32 v49, v37
	s_waitcnt vmcnt(0)
	v_div_scale_f32 v46, s[14:15], v40, v40, v45
	v_div_scale_f32 v48, vcc, v45, v40, v45
	v_div_scale_f32 v47, s[14:15], v36, s93, v36
	v_add_f32_e32 v36, v38, v43
	v_fma_f32 v38, -v37, v49, 1.0
	v_fmac_f32_e32 v49, v38, v49
	v_mov_b32_e32 v43, s6
	v_rcp_f32_e32 v50, v46
	v_mul_f32_e32 v38, v47, v49
	v_fma_f32 v52, -v46, v50, 1.0
	v_fmac_f32_e32 v50, v52, v50
	v_mul_f32_e32 v52, v48, v50
	v_fma_f32 v53, -v46, v52, v48
	v_fmac_f32_e32 v52, v53, v50
	v_fma_f32 v46, -v46, v52, v48
	v_fma_f32 v51, -v37, v38, v47
	v_div_fmas_f32 v46, v46, v50, v52
	v_fmac_f32_e32 v38, v51, v49
	v_fma_f32 v37, -v37, v38, v47
	s_mov_b64 vcc, s[14:15]
	v_div_fmas_f32 v47, v37, v49, v38
	v_add_co_u32_e32 v18, vcc, s53, v18
	v_add_f32_e32 v37, v32, v44
	v_sub_f32_e32 v44, v21, v44
	v_mov_b32_e32 v48, v33
	v_addc_co_u32_e32 v19, vcc, v43, v19, vcc
	v_add_f32_e32 v38, v39, v41
	v_add_f32_e32 v37, v37, v21
	v_fmac_f32_e32 v48, 0x41000000, v44
	v_div_fixup_f32 v43, v46, v40, v45
	v_mul_f32_e32 v21, v45, v43
	v_fmac_f32_e32 v38, v43, v43
	v_fmac_f32_e32 v37, v45, v43
	v_fma_f32 v21, |v21|, s92, v48
	v_div_fixup_f32 v42, v47, s93, |v42|
	v_cndmask_b32_e64 v44, v37, -v37, s[4:5]
	v_fma_f32 v21, |v36|, v38, v21
	v_cmp_gt_f32_e64 s[76:77], v44, v42
	v_add_f32_e32 v20, v20, v21
	s_branch .LBB7_125
.LBB7_123:                              ;   in Loop: Header=BB7_125 Depth=3
	s_or_b64 exec, exec, s[80:81]
	global_load_dword v20, v[16:17], off
	global_load_dword v40, v[14:15], off
	v_and_b32_e32 v21, 0x7fffffff, v37
	v_div_scale_f32 v38, s[14:15], s93, s93, v21
	v_add_f32_e32 v36, v36, v42
	v_add_f32_e32 v42, v32, v43
	v_sub_f32_e32 v43, v45, v43
	v_add_f32_e32 v42, v42, v45
	s_add_i32 s26, s26, 1
	v_rcp_f32_e32 v48, v38
	v_fma_f32 v49, -v38, v48, 1.0
	v_fmac_f32_e32 v48, v49, v48
	s_waitcnt vmcnt(0)
	v_div_scale_f32 v46, s[14:15], v40, v40, v20
	v_div_scale_f32 v47, vcc, v20, v40, v20
	v_div_scale_f32 v21, s[14:15], v21, s93, v21
	v_rcp_f32_e32 v50, v46
	v_mul_f32_e32 v49, v21, v48
	v_fma_f32 v52, -v46, v50, 1.0
	v_fmac_f32_e32 v50, v52, v50
	v_mul_f32_e32 v52, v47, v50
	v_fma_f32 v53, -v46, v52, v47
	v_fmac_f32_e32 v52, v53, v50
	v_fma_f32 v51, -v38, v49, v21
	v_fma_f32 v46, -v46, v52, v47
	v_div_fmas_f32 v46, v46, v50, v52
	v_fmac_f32_e32 v49, v51, v48
	v_fma_f32 v21, -v38, v49, v21
	s_mov_b64 vcc, s[14:15]
	v_div_fmas_f32 v21, v21, v48, v49
	v_mov_b32_e32 v47, v33
	v_fmac_f32_e32 v47, 0x41000000, v43
	v_add_f32_e32 v38, v39, v41
	v_div_fixup_f32 v43, v46, v40, v20
	v_fmac_f32_e32 v42, v20, v43
	v_mul_f32_e32 v45, v20, v43
	v_fmac_f32_e32 v38, v43, v43
	v_div_fixup_f32 v20, v21, s93, |v37|
	v_mul_f32_e32 v37, v37, v42
	v_cmp_gt_f32_e64 s[14:15], |v42|, v20
	v_cmp_lt_f32_e32 vcc, 0, v37
	s_and_b64 s[14:15], vcc, s[14:15]
	s_xor_b64 s[14:15], s[76:77], s[14:15]
	s_cmp_eq_u32 s26, 50
	v_fma_f32 v21, |v45|, s92, v47
	s_cselect_b64 s[80:81], -1, 0
	v_fma_f32 v20, |v36|, v38, v21
	s_andn2_b64 s[74:75], s[74:75], exec
	s_and_b64 s[80:81], s[80:81], exec
	v_add_f32_e32 v20, v44, v20
	s_or_b64 s[74:75], s[74:75], s[80:81]
	v_mov_b32_e32 v37, v42
                                        ; implicit-def: $sgpr76_sgpr77
.LBB7_124:                              ;   in Loop: Header=BB7_125 Depth=3
	s_or_b64 exec, exec, s[78:79]
	s_and_b64 s[78:79], exec, s[74:75]
	s_or_b64 s[72:73], s[78:79], s[72:73]
	s_andn2_b64 s[76:77], s[76:77], exec
	s_and_b64 s[14:15], s[14:15], exec
	s_or_b64 s[76:77], s[76:77], s[14:15]
	s_andn2_b64 exec, exec, s[72:73]
	s_cbranch_execz .LBB7_168
.LBB7_125:                              ;   Parent Loop BB7_4 Depth=1
                                        ;     Parent Loop BB7_44 Depth=2
                                        ; =>    This Loop Header: Depth=3
                                        ;         Child Loop BB7_162 Depth 4
                                        ;         Child Loop BB7_166 Depth 4
	v_mul_f32_e32 v20, s87, v20
	v_cmp_nle_f32_e64 s[80:81], |v37|, v20
	s_or_b64 s[74:75], s[74:75], exec
                                        ; implicit-def: $sgpr14_sgpr15
                                        ; implicit-def: $vgpr20
	s_and_saveexec_b64 s[78:79], s[80:81]
	s_cbranch_execz .LBB7_124
; %bb.126:                              ;   in Loop: Header=BB7_125 Depth=3
	global_load_dwordx2 v[20:21], v[9:10], off
	s_xor_b64 s[80:81], s[76:77], -1
                                        ; implicit-def: $vgpr45
	s_and_saveexec_b64 s[14:15], s[80:81]
	s_xor_b64 s[14:15], exec, s[14:15]
	s_cbranch_execz .LBB7_128
; %bb.127:                              ;   in Loop: Header=BB7_125 Depth=3
	v_fma_f32 v42, v43, v43, v39
	v_fma_f32 v43, v43, v43, v41
	v_cndmask_b32_e64 v39, v39, v42, s[4:5]
	v_cndmask_b32_e64 v41, v43, v41, s[4:5]
	s_waitcnt vmcnt(0)
	v_fma_f32 v42, -v39, v20, v37
	v_fma_f32 v45, -v41, v21, v42
.LBB7_128:                              ;   in Loop: Header=BB7_125 Depth=3
	s_andn2_saveexec_b64 s[14:15], s[14:15]
	s_cbranch_execz .LBB7_134
; %bb.129:                              ;   in Loop: Header=BB7_125 Depth=3
                                        ; implicit-def: $vgpr45
	s_and_saveexec_b64 s[82:83], s[12:13]
	s_xor_b64 s[82:83], exec, s[82:83]
	s_cbranch_execz .LBB7_131
; %bb.130:                              ;   in Loop: Header=BB7_125 Depth=3
	global_load_dword v42, v[11:12], off offset:4
	s_waitcnt vmcnt(0)
	v_mul_f32_e32 v43, v34, v42
	v_mul_f32_e32 v42, v42, v43
	v_div_scale_f32 v43, s[84:85], v21, v21, v42
	v_div_scale_f32 v44, vcc, v42, v21, v42
	v_rcp_f32_e32 v45, v43
	v_fma_f32 v46, -v43, v45, 1.0
	v_fmac_f32_e32 v45, v46, v45
	v_mul_f32_e32 v46, v44, v45
	v_fma_f32 v47, -v43, v46, v44
	v_fmac_f32_e32 v46, v47, v45
	v_fma_f32 v43, -v43, v46, v44
	v_div_fmas_f32 v43, v43, v45, v46
	v_div_fixup_f32 v42, v43, v21, v42
	v_div_scale_f32 v43, s[84:85], v21, v21, v42
	v_div_scale_f32 v44, vcc, v42, v21, v42
	v_rcp_f32_e32 v45, v43
	v_fma_f32 v46, -v43, v45, 1.0
	v_fmac_f32_e32 v45, v46, v45
	v_mul_f32_e32 v46, v44, v45
	v_fma_f32 v47, -v43, v46, v44
	v_fmac_f32_e32 v46, v47, v45
	v_fma_f32 v43, -v43, v46, v44
	v_div_fmas_f32 v43, v43, v45, v46
	v_fma_f32 v44, -v38, v20, v37
	v_div_fixup_f32 v42, v43, v21, v42
	v_sub_f32_e32 v45, v44, v42
.LBB7_131:                              ;   in Loop: Header=BB7_125 Depth=3
	s_andn2_saveexec_b64 s[82:83], s[82:83]
	s_cbranch_execz .LBB7_133
; %bb.132:                              ;   in Loop: Header=BB7_125 Depth=3
	global_load_dword v42, v[11:12], off
	s_waitcnt vmcnt(0)
	v_mul_f32_e32 v43, v35, v42
	v_mul_f32_e32 v42, v42, v43
	v_div_scale_f32 v43, s[84:85], v20, v20, v42
	v_div_scale_f32 v44, vcc, v42, v20, v42
	v_rcp_f32_e32 v45, v43
	v_fma_f32 v46, -v43, v45, 1.0
	v_fmac_f32_e32 v45, v46, v45
	v_mul_f32_e32 v46, v44, v45
	v_fma_f32 v47, -v43, v46, v44
	v_fmac_f32_e32 v46, v47, v45
	v_fma_f32 v43, -v43, v46, v44
	v_div_fmas_f32 v43, v43, v45, v46
	v_div_fixup_f32 v42, v43, v20, v42
	v_div_scale_f32 v43, s[84:85], v20, v20, v42
	v_div_scale_f32 v44, vcc, v42, v20, v42
	v_rcp_f32_e32 v45, v43
	v_fma_f32 v46, -v43, v45, 1.0
	v_fmac_f32_e32 v45, v46, v45
	v_mul_f32_e32 v46, v44, v45
	v_fma_f32 v47, -v43, v46, v44
	v_fmac_f32_e32 v46, v47, v45
	v_fma_f32 v43, -v43, v46, v44
	v_div_fmas_f32 v43, v43, v45, v46
	v_fma_f32 v44, -v38, v21, v37
	v_div_fixup_f32 v42, v43, v20, v42
	v_sub_f32_e32 v45, v44, v42
.LBB7_133:                              ;   in Loop: Header=BB7_125 Depth=3
	s_or_b64 exec, exec, s[82:83]
.LBB7_134:                              ;   in Loop: Header=BB7_125 Depth=3
	s_or_b64 exec, exec, s[14:15]
	s_waitcnt vmcnt(0)
	v_mul_f32_e32 v43, v20, v21
	v_add_f32_e32 v42, v20, v21
	v_mul_f32_e32 v44, v38, v43
	v_fma_f32 v44, v37, v42, -v44
	v_mul_f32_e32 v43, v37, v43
	v_cmp_neq_f32_e32 vcc, 0, v45
                                        ; implicit-def: $vgpr42
	s_and_saveexec_b64 s[14:15], vcc
	s_xor_b64 s[82:83], exec, s[14:15]
	s_cbranch_execz .LBB7_140
; %bb.135:                              ;   in Loop: Header=BB7_125 Depth=3
	v_mul_f32_e32 v20, -4.0, v43
	v_mul_f32_e32 v20, v20, v45
	v_fmac_f32_e32 v20, v44, v44
	v_mul_f32_e64 v21, |v20|, s91
	v_cmp_lt_f32_e64 vcc, |v20|, s37
	v_cndmask_b32_e64 v20, |v20|, v21, vcc
	v_sqrt_f32_e32 v21, v20
	v_add_u32_e32 v39, -1, v21
	v_add_u32_e32 v41, 1, v21
	v_fma_f32 v42, -v39, v21, v20
	v_fma_f32 v46, -v41, v21, v20
	v_cmp_ge_f32_e64 s[14:15], 0, v42
	v_cndmask_b32_e64 v21, v21, v39, s[14:15]
	v_cmp_lt_f32_e64 s[14:15], 0, v46
	v_cndmask_b32_e64 v21, v21, v41, s[14:15]
	v_mul_f32_e32 v39, 0x37800000, v21
	v_cndmask_b32_e32 v21, v21, v39, vcc
	v_cmp_class_f32_e32 vcc, v20, v29
	v_cndmask_b32_e32 v20, v21, v20, vcc
	v_cmp_ge_f32_e32 vcc, 0, v44
                                        ; implicit-def: $vgpr42
	s_and_saveexec_b64 s[14:15], vcc
	s_xor_b64 s[14:15], exec, s[14:15]
	s_cbranch_execz .LBB7_137
; %bb.136:                              ;   in Loop: Header=BB7_125 Depth=3
	v_sub_f32_e32 v20, v44, v20
	v_add_f32_e32 v21, v45, v45
	v_div_scale_f32 v39, s[84:85], v21, v21, v20
	v_div_scale_f32 v41, vcc, v20, v21, v20
	v_rcp_f32_e32 v42, v39
	v_fma_f32 v43, -v39, v42, 1.0
	v_fmac_f32_e32 v42, v43, v42
	v_mul_f32_e32 v43, v41, v42
	v_fma_f32 v44, -v39, v43, v41
	v_fmac_f32_e32 v43, v44, v42
	v_fma_f32 v39, -v39, v43, v41
	v_div_fmas_f32 v39, v39, v42, v43
                                        ; implicit-def: $vgpr43
                                        ; implicit-def: $vgpr44
	v_div_fixup_f32 v42, v39, v21, v20
                                        ; implicit-def: $vgpr20
.LBB7_137:                              ;   in Loop: Header=BB7_125 Depth=3
	s_andn2_saveexec_b64 s[14:15], s[14:15]
	s_cbranch_execz .LBB7_139
; %bb.138:                              ;   in Loop: Header=BB7_125 Depth=3
	v_add_f32_e32 v21, v43, v43
	v_add_f32_e32 v20, v44, v20
	v_div_scale_f32 v39, s[84:85], v20, v20, v21
	v_div_scale_f32 v41, vcc, v21, v20, v21
	v_rcp_f32_e32 v42, v39
	v_fma_f32 v43, -v39, v42, 1.0
	v_fmac_f32_e32 v42, v43, v42
	v_mul_f32_e32 v43, v41, v42
	v_fma_f32 v44, -v39, v43, v41
	v_fmac_f32_e32 v43, v44, v42
	v_fma_f32 v39, -v39, v43, v41
	v_div_fmas_f32 v39, v39, v42, v43
	v_div_fixup_f32 v42, v39, v20, v21
.LBB7_139:                              ;   in Loop: Header=BB7_125 Depth=3
	s_or_b64 exec, exec, s[14:15]
                                        ; implicit-def: $vgpr44
                                        ; implicit-def: $vgpr43
                                        ; implicit-def: $vgpr20_vgpr21
                                        ; implicit-def: $vgpr41
                                        ; implicit-def: $vgpr39
.LBB7_140:                              ;   in Loop: Header=BB7_125 Depth=3
	s_andn2_saveexec_b64 s[14:15], s[82:83]
	s_cbranch_execz .LBB7_152
; %bb.141:                              ;   in Loop: Header=BB7_125 Depth=3
	v_cmp_eq_f32_e32 vcc, 0, v44
	s_and_saveexec_b64 s[82:83], vcc
	s_cbranch_execz .LBB7_151
; %bb.142:                              ;   in Loop: Header=BB7_125 Depth=3
                                        ; implicit-def: $vgpr44
	s_and_saveexec_b64 s[84:85], s[80:81]
	s_xor_b64 s[80:81], exec, s[84:85]
; %bb.143:                              ;   in Loop: Header=BB7_125 Depth=3
	v_mul_f32_e32 v21, v21, v21
	v_mul_f32_e32 v20, v20, v20
	;; [unrolled: 1-line block ×3, first 2 shown]
	v_fmac_f32_e32 v44, v20, v39
                                        ; implicit-def: $vgpr20_vgpr21
                                        ; implicit-def: $vgpr39
                                        ; implicit-def: $vgpr41
; %bb.144:                              ;   in Loop: Header=BB7_125 Depth=3
	s_andn2_saveexec_b64 s[80:81], s[80:81]
	s_cbranch_execz .LBB7_150
; %bb.145:                              ;   in Loop: Header=BB7_125 Depth=3
	v_add_f32_e32 v39, v39, v41
                                        ; implicit-def: $vgpr44
	s_and_saveexec_b64 s[84:85], s[12:13]
	s_xor_b64 s[84:85], exec, s[84:85]
	s_cbranch_execz .LBB7_147
; %bb.146:                              ;   in Loop: Header=BB7_125 Depth=3
	global_load_dword v21, v[11:12], off offset:4
	v_mul_f32_e32 v20, v20, v20
	s_waitcnt vmcnt(0)
	v_mul_f32_e32 v44, v21, v21
	v_fmac_f32_e32 v44, v20, v39
                                        ; implicit-def: $vgpr20_vgpr21
                                        ; implicit-def: $vgpr39
.LBB7_147:                              ;   in Loop: Header=BB7_125 Depth=3
	s_andn2_saveexec_b64 s[84:85], s[84:85]
	s_cbranch_execz .LBB7_149
; %bb.148:                              ;   in Loop: Header=BB7_125 Depth=3
	global_load_dword v20, v[11:12], off
	s_waitcnt vmcnt(0)
	v_mul_f32_e32 v44, v20, v20
	v_mul_f32_e32 v20, v21, v21
	v_fmac_f32_e32 v44, v20, v39
.LBB7_149:                              ;   in Loop: Header=BB7_125 Depth=3
	s_or_b64 exec, exec, s[84:85]
.LBB7_150:                              ;   in Loop: Header=BB7_125 Depth=3
	s_or_b64 exec, exec, s[80:81]
.LBB7_151:                              ;   in Loop: Header=BB7_125 Depth=3
	s_or_b64 exec, exec, s[82:83]
	v_div_scale_f32 v20, s[80:81], v44, v44, v43
	v_div_scale_f32 v21, vcc, v43, v44, v43
	v_rcp_f32_e32 v39, v20
	v_fma_f32 v41, -v20, v39, 1.0
	v_fmac_f32_e32 v39, v41, v39
	v_mul_f32_e32 v41, v21, v39
	v_fma_f32 v42, -v20, v41, v21
	v_fmac_f32_e32 v41, v42, v39
	v_fma_f32 v20, -v20, v41, v21
	v_div_fmas_f32 v20, v20, v39, v41
	v_div_fixup_f32 v42, v20, v44, v43
.LBB7_152:                              ;   in Loop: Header=BB7_125 Depth=3
	s_or_b64 exec, exec, s[14:15]
	v_mul_f32_e32 v20, v37, v42
	v_cmp_le_f32_e32 vcc, 0, v20
	s_and_saveexec_b64 s[14:15], vcc
	s_cbranch_execz .LBB7_154
; %bb.153:                              ;   in Loop: Header=BB7_125 Depth=3
	v_div_scale_f32 v20, s[80:81], v38, v38, -v37
	v_div_scale_f32 v21, vcc, -v37, v38, -v37
	v_rcp_f32_e32 v39, v20
	v_fma_f32 v41, -v20, v39, 1.0
	v_fmac_f32_e32 v39, v41, v39
	v_mul_f32_e32 v41, v21, v39
	v_fma_f32 v42, -v20, v41, v21
	v_fmac_f32_e32 v41, v42, v39
	v_fma_f32 v20, -v20, v41, v21
	v_div_fmas_f32 v20, v20, v39, v41
	v_div_fixup_f32 v42, v20, v38, -v37
.LBB7_154:                              ;   in Loop: Header=BB7_125 Depth=3
	s_or_b64 exec, exec, s[14:15]
	v_cmp_lt_f32_e32 vcc, v22, v36
	v_cndmask_b32_e32 v20, v22, v36, vcc
	v_cmp_nge_f32_e32 vcc, 0, v37
	v_cndmask_b32_e32 v22, v20, v22, vcc
	v_cmp_lt_f32_e32 vcc, 0, v37
	v_cmp_lt_f32_e64 s[14:15], v36, v23
	s_and_b64 vcc, vcc, s[14:15]
	v_cndmask_b32_e32 v23, v23, v36, vcc
	v_add_f32_e32 v20, v36, v42
	v_cmp_gt_f32_e32 vcc, v20, v23
	v_cmp_lt_f32_e64 s[14:15], v20, v22
	s_or_b64 s[80:81], vcc, s[14:15]
	s_and_saveexec_b64 s[14:15], s[80:81]
	s_cbranch_execz .LBB7_160
; %bb.155:                              ;   in Loop: Header=BB7_125 Depth=3
	v_cmp_ngt_f32_e32 vcc, 0, v37
                                        ; implicit-def: $vgpr42
	s_and_saveexec_b64 s[80:81], vcc
	s_xor_b64 s[80:81], exec, s[80:81]
; %bb.156:                              ;   in Loop: Header=BB7_125 Depth=3
	v_sub_f32_e32 v20, v22, v36
	v_mul_f32_e32 v42, 0.5, v20
; %bb.157:                              ;   in Loop: Header=BB7_125 Depth=3
	s_andn2_saveexec_b64 s[80:81], s[80:81]
; %bb.158:                              ;   in Loop: Header=BB7_125 Depth=3
	v_sub_f32_e32 v20, v23, v36
	v_mul_f32_e32 v42, 0.5, v20
; %bb.159:                              ;   in Loop: Header=BB7_125 Depth=3
	s_or_b64 exec, exec, s[80:81]
.LBB7_160:                              ;   in Loop: Header=BB7_125 Depth=3
	s_or_b64 exec, exec, s[14:15]
	v_sub_f32_e32 v20, v40, v42
	v_mov_b32_e32 v39, 0
	v_mov_b32_e32 v44, 0
	;; [unrolled: 1-line block ×3, first 2 shown]
	global_store_dword v[14:15], v20, off
	s_and_saveexec_b64 s[80:81], s[10:11]
	s_cbranch_execz .LBB7_164
; %bb.161:                              ;   in Loop: Header=BB7_125 Depth=3
	v_mov_b32_e32 v21, v8
	v_mov_b32_e32 v39, 0
	s_mov_b64 s[82:83], 0
	s_mov_b64 s[84:85], s[44:45]
	v_mov_b32_e32 v20, v7
	v_mov_b32_e32 v40, v13
	;; [unrolled: 1-line block ×4, first 2 shown]
.LBB7_162:                              ;   Parent Loop BB7_4 Depth=1
                                        ;     Parent Loop BB7_44 Depth=2
                                        ;       Parent Loop BB7_125 Depth=3
                                        ; =>      This Inner Loop Header: Depth=4
	global_load_dword v41, v[20:21], off
	v_add_u32_e32 v40, -1, v40
	s_waitcnt vmcnt(0)
	v_sub_f32_e32 v41, v41, v42
	global_store_dword v[20:21], v41, off
	global_load_dword v44, v2, s[84:85]
	s_add_u32 s84, s84, 4
	s_addc_u32 s85, s85, 0
	s_waitcnt vmcnt(0)
	v_div_scale_f32 v45, s[14:15], v41, v41, v44
	v_div_scale_f32 v46, vcc, v44, v41, v44
	v_add_co_u32_e64 v20, s[14:15], 4, v20
	v_addc_co_u32_e64 v21, s[14:15], 0, v21, s[14:15]
	v_rcp_f32_e32 v47, v45
	v_fma_f32 v48, -v45, v47, 1.0
	v_fmac_f32_e32 v47, v48, v47
	v_mul_f32_e32 v48, v46, v47
	v_fma_f32 v49, -v45, v48, v46
	v_fmac_f32_e32 v48, v49, v47
	v_fma_f32 v45, -v45, v48, v46
	v_div_fmas_f32 v45, v45, v47, v48
	v_cmp_eq_u32_e32 vcc, 0, v40
	s_or_b64 s[82:83], vcc, s[82:83]
	v_div_fixup_f32 v41, v45, v41, v44
	v_fmac_f32_e32 v43, v44, v41
	v_fmac_f32_e32 v39, v41, v41
	v_add_f32_e32 v38, v38, v43
	s_andn2_b64 exec, exec, s[82:83]
	s_cbranch_execnz .LBB7_162
; %bb.163:                              ;   in Loop: Header=BB7_125 Depth=3
	s_or_b64 exec, exec, s[82:83]
	v_and_b32_e32 v44, 0x7fffffff, v38
.LBB7_164:                              ;   in Loop: Header=BB7_125 Depth=3
	s_or_b64 exec, exec, s[80:81]
	v_mov_b32_e32 v41, 0
	v_mov_b32_e32 v45, 0
	s_and_saveexec_b64 s[80:81], s[8:9]
	s_cbranch_execz .LBB7_123
; %bb.165:                              ;   in Loop: Header=BB7_125 Depth=3
	v_mov_b32_e32 v21, v19
	v_mov_b32_e32 v41, 0
	s_mov_b64 s[82:83], 0
	s_mov_b64 s[84:85], s[62:63]
	v_mov_b32_e32 v20, v18
	s_mov_b32 s36, s52
	v_mov_b32_e32 v45, 0
.LBB7_166:                              ;   Parent Loop BB7_4 Depth=1
                                        ;     Parent Loop BB7_44 Depth=2
                                        ;       Parent Loop BB7_125 Depth=3
                                        ; =>      This Inner Loop Header: Depth=4
	global_load_dword v38, v[20:21], off
	s_add_i32 s36, s36, -1
	s_waitcnt vmcnt(0)
	v_sub_f32_e32 v38, v38, v42
	global_store_dword v[20:21], v38, off
	global_load_dword v40, v2, s[84:85]
	s_add_u32 s84, s84, -4
	s_addc_u32 s85, s85, -1
	s_waitcnt vmcnt(0)
	v_div_scale_f32 v46, s[14:15], v38, v38, v40
	v_div_scale_f32 v47, vcc, v40, v38, v40
	v_add_co_u32_e64 v20, s[14:15], -4, v20
	v_addc_co_u32_e64 v21, s[14:15], -1, v21, s[14:15]
	v_rcp_f32_e32 v48, v46
	v_fma_f32 v49, -v46, v48, 1.0
	v_fmac_f32_e32 v48, v49, v48
	v_mul_f32_e32 v49, v47, v48
	v_fma_f32 v50, -v46, v49, v47
	v_fmac_f32_e32 v49, v50, v48
	v_fma_f32 v46, -v46, v49, v47
	v_div_fmas_f32 v46, v46, v48, v49
	v_cmp_le_i32_e32 vcc, s36, v13
	s_or_b64 s[82:83], vcc, s[82:83]
	v_div_fixup_f32 v38, v46, v38, v40
	v_fmac_f32_e32 v45, v40, v38
	v_fmac_f32_e32 v41, v38, v38
	v_add_f32_e32 v44, v44, v45
	s_andn2_b64 exec, exec, s[82:83]
	s_cbranch_execnz .LBB7_166
; %bb.167:                              ;   in Loop: Header=BB7_125 Depth=3
	s_or_b64 exec, exec, s[82:83]
	s_branch .LBB7_123
.LBB7_168:                              ;   in Loop: Header=BB7_44 Depth=2
	s_or_b64 exec, exec, s[72:73]
	v_add_f32_e32 v35, v4, v36
.LBB7_169:                              ;   in Loop: Header=BB7_44 Depth=2
	s_or_b64 exec, exec, s[70:71]
                                        ; implicit-def: $vgpr7_vgpr8
                                        ; implicit-def: $vgpr36
                                        ; implicit-def: $vgpr37
	s_andn2_saveexec_b64 s[14:15], s[68:69]
	s_cbranch_execz .LBB7_53
.LBB7_170:                              ;   in Loop: Header=BB7_44 Depth=2
	v_mov_b32_e32 v4, s57
	v_add_co_u32_e32 v11, vcc, s56, v36
	v_addc_co_u32_e32 v12, vcc, v37, v4, vcc
	global_load_dwordx2 v[9:10], v[11:12], off offset:-8
	s_andn2_b64 vcc, exec, s[54:55]
	v_mov_b32_e32 v4, 0
	s_waitcnt vmcnt(0)
	v_mov_b32_e32 v15, v10
	v_add_f32_e32 v16, v31, v10
	s_cbranch_vccnz .LBB7_173
; %bb.171:                              ;   in Loop: Header=BB7_44 Depth=2
	v_mov_b32_e32 v14, v8
	v_mov_b32_e32 v4, 0
	s_mov_b64 s[4:5], s[44:45]
	v_mov_b32_e32 v13, v7
	s_mov_b32 s8, s19
.LBB7_172:                              ;   Parent Loop BB7_4 Depth=1
                                        ;     Parent Loop BB7_44 Depth=2
                                        ; =>    This Inner Loop Header: Depth=3
	global_load_dword v17, v[13:14], off
	global_load_dword v18, v2, s[4:5]
	s_add_i32 s8, s8, -1
	s_add_u32 s4, s4, 4
	s_addc_u32 s5, s5, 0
	s_cmp_lg_u32 s8, 0
	s_waitcnt vmcnt(1)
	v_sub_f32_e32 v17, v17, v16
	s_waitcnt vmcnt(0)
	v_div_scale_f32 v19, s[10:11], v17, v17, v18
	v_div_scale_f32 v20, vcc, v18, v17, v18
	v_rcp_f32_e32 v21, v19
	v_fma_f32 v22, -v19, v21, 1.0
	v_fmac_f32_e32 v21, v22, v21
	v_mul_f32_e32 v22, v20, v21
	v_fma_f32 v23, -v19, v22, v20
	v_fmac_f32_e32 v22, v23, v21
	v_fma_f32 v19, -v19, v22, v20
	v_div_fmas_f32 v19, v19, v21, v22
	v_add_co_u32_e32 v13, vcc, 4, v13
	v_addc_co_u32_e32 v14, vcc, 0, v14, vcc
	v_div_fixup_f32 v17, v19, v17, v18
	v_fmac_f32_e32 v4, v18, v17
	s_cbranch_scc1 .LBB7_172
.LBB7_173:                              ;   in Loop: Header=BB7_44 Depth=2
	global_load_dwordx2 v[17:18], v2, s[58:59] offset:-8
	v_sub_f32_e32 v19, v9, v16
	s_waitcnt vmcnt(0)
	v_mul_f32_e32 v14, v17, v17
	v_div_scale_f32 v13, s[4:5], v19, v19, v14
	v_div_scale_f32 v16, vcc, v14, v19, v14
	v_rcp_f32_e32 v17, v13
	v_fma_f32 v20, -v13, v17, 1.0
	v_fmac_f32_e32 v17, v20, v17
	v_mul_f32_e32 v20, v16, v17
	v_fma_f32 v21, -v13, v20, v16
	v_fmac_f32_e32 v20, v21, v17
	v_fma_f32 v13, -v13, v20, v16
	v_div_fmas_f32 v20, v13, v17, v20
	v_add_f32_e32 v16, v32, v4
	v_mul_f32_e32 v17, v18, v18
	v_add_f32_e32 v13, 0, v16
	v_add_f32_e32 v4, v17, v17
	v_mul_f32_e32 v4, v32, v4
	v_div_fixup_f32 v18, v20, v19, v14
	v_add_f32_e32 v18, v13, v18
	v_cmp_ngt_f32_e32 vcc, v18, v4
	v_sub_f32_e32 v18, v10, v9
                                        ; implicit-def: $vgpr4
	s_and_saveexec_b64 s[4:5], vcc
	s_xor_b64 s[8:9], exec, s[4:5]
	s_cbranch_execz .LBB7_181
; %bb.174:                              ;   in Loop: Header=BB7_44 Depth=2
	v_add_f32_e32 v4, v30, v18
	v_div_scale_f32 v19, s[4:5], v4, v4, v14
	v_div_scale_f32 v9, s[4:5], v30, v30, v17
	v_div_scale_f32 v21, vcc, v14, v4, v14
	v_div_scale_f32 v20, s[4:5], v17, v30, v17
	v_rcp_f32_e32 v23, v19
	v_rcp_f32_e32 v22, v9
	v_fma_f32 v35, -v19, v23, 1.0
	v_fmac_f32_e32 v23, v35, v23
	v_fma_f32 v34, -v9, v22, 1.0
	v_fmac_f32_e32 v22, v34, v22
	v_mul_f32_e32 v35, v21, v23
	v_mul_f32_e32 v34, v20, v22
	v_fma_f32 v37, -v19, v35, v21
	v_fma_f32 v36, -v9, v34, v20
	v_fmac_f32_e32 v35, v37, v23
	v_fmac_f32_e32 v34, v36, v22
	v_fma_f32 v19, -v19, v35, v21
	v_fma_f32 v9, -v9, v34, v20
	v_div_fmas_f32 v19, v19, v23, v35
	s_mov_b64 vcc, s[4:5]
	v_div_fmas_f32 v9, v9, v22, v34
	v_div_fixup_f32 v4, v19, v4, v14
	v_div_fixup_f32 v9, v9, v30, v17
	v_add_f32_e32 v4, v4, v9
	v_cmp_nle_f32_e32 vcc, v16, v4
	v_mov_b32_e32 v4, v30
	s_and_saveexec_b64 s[10:11], vcc
	s_cbranch_execz .LBB7_180
; %bb.175:                              ;   in Loop: Header=BB7_44 Depth=2
	v_fma_f32 v4, -v18, v13, v14
	v_mul_f32_e32 v14, v18, v17
	v_add_f32_e32 v9, v17, v4
	v_mul_f32_e32 v4, 4.0, v14
	v_mul_f32_e32 v4, v13, v4
	v_fmac_f32_e32 v4, v9, v9
	v_mul_f32_e32 v16, 0x4f800000, v4
	v_cmp_gt_f32_e32 vcc, s37, v4
	v_cndmask_b32_e32 v4, v4, v16, vcc
	v_sqrt_f32_e32 v16, v4
	v_add_u32_e32 v17, -1, v16
	v_fma_f32 v18, -v17, v16, v4
	v_cmp_ge_f32_e64 s[4:5], 0, v18
	v_add_u32_e32 v18, 1, v16
	v_cndmask_b32_e64 v17, v16, v17, s[4:5]
	v_fma_f32 v16, -v18, v16, v4
	v_cmp_lt_f32_e64 s[4:5], 0, v16
	v_cndmask_b32_e64 v16, v17, v18, s[4:5]
	v_mul_f32_e32 v17, 0x37800000, v16
	v_cndmask_b32_e32 v16, v16, v17, vcc
	v_cmp_class_f32_e32 vcc, v4, v29
	v_cndmask_b32_e32 v16, v16, v4, vcc
	v_cmp_ngt_f32_e32 vcc, 0, v9
                                        ; implicit-def: $vgpr4
	s_and_saveexec_b64 s[4:5], vcc
	s_xor_b64 s[4:5], exec, s[4:5]
	s_cbranch_execz .LBB7_177
; %bb.176:                              ;   in Loop: Header=BB7_44 Depth=2
	v_add_f32_e32 v4, v9, v16
	v_add_f32_e32 v9, v13, v13
	v_div_scale_f32 v13, s[12:13], v9, v9, v4
	v_div_scale_f32 v14, vcc, v4, v9, v4
	v_rcp_f32_e32 v16, v13
	v_fma_f32 v17, -v13, v16, 1.0
	v_fmac_f32_e32 v16, v17, v16
	v_mul_f32_e32 v17, v14, v16
	v_fma_f32 v18, -v13, v17, v14
	v_fmac_f32_e32 v17, v18, v16
	v_fma_f32 v13, -v13, v17, v14
	v_div_fmas_f32 v13, v13, v16, v17
                                        ; implicit-def: $vgpr14
                                        ; implicit-def: $vgpr16
	v_div_fixup_f32 v4, v13, v9, v4
                                        ; implicit-def: $vgpr9
.LBB7_177:                              ;   in Loop: Header=BB7_44 Depth=2
	s_andn2_saveexec_b64 s[4:5], s[4:5]
	s_cbranch_execz .LBB7_179
; %bb.178:                              ;   in Loop: Header=BB7_44 Depth=2
	v_add_f32_e32 v4, v14, v14
	v_sub_f32_e32 v9, v16, v9
	v_div_scale_f32 v13, s[12:13], v9, v9, v4
	v_div_scale_f32 v14, vcc, v4, v9, v4
	v_rcp_f32_e32 v16, v13
	v_fma_f32 v17, -v13, v16, 1.0
	v_fmac_f32_e32 v16, v17, v16
	v_mul_f32_e32 v17, v14, v16
	v_fma_f32 v18, -v13, v17, v14
	v_fmac_f32_e32 v17, v18, v16
	v_fma_f32 v13, -v13, v17, v14
	v_div_fmas_f32 v13, v13, v16, v17
	v_div_fixup_f32 v4, v13, v9, v4
.LBB7_179:                              ;   in Loop: Header=BB7_44 Depth=2
	s_or_b64 exec, exec, s[4:5]
.LBB7_180:                              ;   in Loop: Header=BB7_44 Depth=2
	s_or_b64 exec, exec, s[10:11]
                                        ; implicit-def: $vgpr18
                                        ; implicit-def: $vgpr13
                                        ; implicit-def: $vgpr14
                                        ; implicit-def: $vgpr17
.LBB7_181:                              ;   in Loop: Header=BB7_44 Depth=2
	s_or_saveexec_b64 s[8:9], s[8:9]
	v_mov_b32_e32 v16, v31
	v_mov_b32_e32 v9, v30
	s_xor_b64 exec, exec, s[8:9]
	s_cbranch_execz .LBB7_187
; %bb.182:                              ;   in Loop: Header=BB7_44 Depth=2
	v_fma_f32 v4, -v18, v13, v14
	v_mul_f32_e32 v14, v18, v17
	v_add_f32_e32 v9, v17, v4
	v_mul_f32_e32 v4, 4.0, v14
	v_mul_f32_e32 v4, v13, v4
	v_fmac_f32_e32 v4, v9, v9
	v_mul_f32_e32 v16, 0x4f800000, v4
	v_cmp_gt_f32_e32 vcc, s37, v4
	v_cndmask_b32_e32 v4, v4, v16, vcc
	v_sqrt_f32_e32 v16, v4
	v_add_u32_e32 v17, -1, v16
	v_fma_f32 v18, -v17, v16, v4
	v_cmp_ge_f32_e64 s[4:5], 0, v18
	v_add_u32_e32 v18, 1, v16
	v_cndmask_b32_e64 v17, v16, v17, s[4:5]
	v_fma_f32 v16, -v18, v16, v4
	v_cmp_lt_f32_e64 s[4:5], 0, v16
	v_cndmask_b32_e64 v16, v17, v18, s[4:5]
	v_mul_f32_e32 v17, 0x37800000, v16
	v_cndmask_b32_e32 v16, v16, v17, vcc
	v_cmp_class_f32_e32 vcc, v4, v29
	v_cndmask_b32_e32 v16, v16, v4, vcc
	v_cmp_ngt_f32_e32 vcc, 0, v9
                                        ; implicit-def: $vgpr4
	s_and_saveexec_b64 s[4:5], vcc
	s_xor_b64 s[4:5], exec, s[4:5]
	s_cbranch_execz .LBB7_184
; %bb.183:                              ;   in Loop: Header=BB7_44 Depth=2
	v_add_f32_e32 v4, v9, v16
	v_add_f32_e32 v9, v13, v13
	v_div_scale_f32 v13, s[10:11], v9, v9, v4
	v_div_scale_f32 v14, vcc, v4, v9, v4
	v_rcp_f32_e32 v16, v13
	v_fma_f32 v17, -v13, v16, 1.0
	v_fmac_f32_e32 v16, v17, v16
	v_mul_f32_e32 v17, v14, v16
	v_fma_f32 v18, -v13, v17, v14
	v_fmac_f32_e32 v17, v18, v16
	v_fma_f32 v13, -v13, v17, v14
	v_div_fmas_f32 v13, v13, v16, v17
                                        ; implicit-def: $vgpr14
                                        ; implicit-def: $vgpr16
	v_div_fixup_f32 v4, v13, v9, v4
                                        ; implicit-def: $vgpr9
.LBB7_184:                              ;   in Loop: Header=BB7_44 Depth=2
	s_andn2_saveexec_b64 s[4:5], s[4:5]
	s_cbranch_execz .LBB7_186
; %bb.185:                              ;   in Loop: Header=BB7_44 Depth=2
	v_add_f32_e32 v4, v14, v14
	v_sub_f32_e32 v9, v16, v9
	v_div_scale_f32 v13, s[10:11], v9, v9, v4
	v_div_scale_f32 v14, vcc, v4, v9, v4
	v_rcp_f32_e32 v16, v13
	v_fma_f32 v17, -v13, v16, 1.0
	v_fmac_f32_e32 v16, v17, v16
	v_mul_f32_e32 v17, v14, v16
	v_fma_f32 v18, -v13, v17, v14
	v_fmac_f32_e32 v17, v18, v16
	v_fma_f32 v13, -v13, v17, v14
	v_div_fmas_f32 v13, v13, v16, v17
	v_div_fixup_f32 v4, v13, v9, v4
.LBB7_186:                              ;   in Loop: Header=BB7_44 Depth=2
	s_or_b64 exec, exec, s[4:5]
	v_mov_b32_e32 v16, 0
	v_mov_b32_e32 v9, v31
.LBB7_187:                              ;   in Loop: Header=BB7_44 Depth=2
	s_or_b64 exec, exec, s[8:9]
	v_cndmask_b32_e64 v13, 0, 1, s[60:61]
	v_cmp_ne_u32_e64 s[4:5], 1, v13
	v_mov_b32_e32 v14, v8
	s_andn2_b64 vcc, exec, s[60:61]
	v_mov_b32_e32 v13, v7
	s_mov_b32 s8, s52
	s_cbranch_vccnz .LBB7_190
.LBB7_188:                              ;   Parent Loop BB7_4 Depth=1
                                        ;     Parent Loop BB7_44 Depth=2
                                        ; =>    This Inner Loop Header: Depth=3
	global_load_dword v15, v[13:14], off
	s_add_i32 s8, s8, -1
	s_cmp_eq_u32 s8, 0
	s_waitcnt vmcnt(0)
	v_sub_f32_e32 v15, v15, v10
	global_store_dword v[13:14], v15, off
	v_add_co_u32_e32 v13, vcc, 4, v13
	v_addc_co_u32_e32 v14, vcc, 0, v14, vcc
	s_cbranch_scc0 .LBB7_188
; %bb.189:                              ;   in Loop: Header=BB7_44 Depth=2
	global_load_dword v15, v[11:12], off offset:-4
.LBB7_190:                              ;   in Loop: Header=BB7_44 Depth=2
	s_waitcnt vmcnt(0)
	v_sub_f32_e32 v13, v15, v10
	v_mov_b32_e32 v17, 0
	s_and_b64 vcc, exec, s[4:5]
	v_mov_b32_e32 v14, 0
	v_mov_b32_e32 v18, 0
	global_store_dword v[11:12], v13, off offset:-4
	s_cbranch_vccnz .LBB7_194
; %bb.191:                              ;   in Loop: Header=BB7_44 Depth=2
	v_mov_b32_e32 v14, v8
	v_mov_b32_e32 v17, 0
	s_mov_b64 s[8:9], s[44:45]
	v_mov_b32_e32 v13, v7
	s_mov_b32 s10, s52
	v_mov_b32_e32 v15, 0
	v_mov_b32_e32 v18, 0
.LBB7_192:                              ;   Parent Loop BB7_4 Depth=1
                                        ;     Parent Loop BB7_44 Depth=2
                                        ; =>    This Inner Loop Header: Depth=3
	global_load_dword v19, v[13:14], off
	s_add_i32 s10, s10, -1
	s_waitcnt vmcnt(0)
	v_sub_f32_e32 v19, v19, v4
	global_store_dword v[13:14], v19, off
	global_load_dword v20, v2, s[8:9]
	s_add_u32 s8, s8, 4
	s_addc_u32 s9, s9, 0
	s_cmp_eq_u32 s10, 0
	s_waitcnt vmcnt(0)
	v_div_scale_f32 v21, s[12:13], v19, v19, v20
	v_div_scale_f32 v22, vcc, v20, v19, v20
	v_rcp_f32_e32 v23, v21
	v_fma_f32 v34, -v21, v23, 1.0
	v_fmac_f32_e32 v23, v34, v23
	v_mul_f32_e32 v34, v22, v23
	v_fma_f32 v35, -v21, v34, v22
	v_fmac_f32_e32 v34, v35, v23
	v_fma_f32 v21, -v21, v34, v22
	v_div_fmas_f32 v21, v21, v23, v34
	v_add_co_u32_e32 v13, vcc, 4, v13
	v_addc_co_u32_e32 v14, vcc, 0, v14, vcc
	v_div_fixup_f32 v19, v21, v19, v20
	v_fmac_f32_e32 v18, v20, v19
	v_fmac_f32_e32 v17, v19, v19
	v_add_f32_e32 v15, v15, v18
	s_cbranch_scc0 .LBB7_192
; %bb.193:                              ;   in Loop: Header=BB7_44 Depth=2
	global_load_dword v13, v[11:12], off offset:-4
	v_and_b32_e32 v14, 0x7fffffff, v15
.LBB7_194:                              ;   in Loop: Header=BB7_44 Depth=2
	s_waitcnt vmcnt(0)
	v_sub_f32_e32 v13, v13, v4
	global_store_dword v[11:12], v13, off offset:-4
	global_load_dword v15, v2, s[58:59] offset:-4
	s_waitcnt vmcnt(0)
	v_div_scale_f32 v19, s[8:9], v13, v13, v15
	v_div_scale_f32 v20, vcc, v15, v13, v15
	v_rcp_f32_e32 v21, v19
	v_fma_f32 v22, -v19, v21, 1.0
	v_fmac_f32_e32 v21, v22, v21
	v_mul_f32_e32 v22, v20, v21
	v_fma_f32 v23, -v19, v22, v20
	v_fmac_f32_e32 v22, v23, v21
	v_fma_f32 v19, -v19, v22, v20
	v_div_fmas_f32 v19, v19, v21, v22
	v_add_f32_e32 v20, v32, v18
	v_div_fixup_f32 v19, v19, v13, v15
	v_fma_f32 v21, v15, v19, 0
	v_add_f32_e32 v18, v18, v21
	v_fma_f32 v15, v19, v19, v17
	v_mul_f32_e32 v18, 0xc1000000, v18
	v_fma_f32 v18, |v4|, v15, v18
	v_sub_f32_e32 v18, v18, v21
	v_add_f32_e32 v22, v14, v21
	v_add_f32_e32 v18, v32, v18
	;; [unrolled: 1-line block ×4, first 2 shown]
	v_mul_f32_e32 v18, s87, v18
	v_cmp_nle_f32_e64 s[8:9], |v14|, v18
	s_and_saveexec_b64 s[68:69], s[8:9]
	s_cbranch_execz .LBB7_236
; %bb.195:                              ;   in Loop: Header=BB7_44 Depth=2
	global_load_dword v18, v[11:12], off offset:-8
	v_mul_f32_e32 v19, v19, v19
	v_cmp_lt_f32_e64 s[10:11], 0, v14
	v_cmp_lt_f32_e64 s[8:9], v4, v9
	s_waitcnt vmcnt(0)
	v_fma_f32 v17, -v17, v18, v14
	v_fma_f32 v19, -v13, v19, v17
	v_cmp_neq_f32_e32 vcc, 0, v19
                                        ; implicit-def: $vgpr17
	s_and_saveexec_b64 s[12:13], vcc
	s_xor_b64 s[70:71], exec, s[12:13]
	s_cbranch_execz .LBB7_201
; %bb.196:                              ;   in Loop: Header=BB7_44 Depth=2
	v_mul_f32_e32 v20, v13, v18
	v_add_f32_e32 v17, v13, v18
	v_mul_f32_e32 v18, v15, v20
	v_mul_f32_e32 v20, v14, v20
	v_fma_f32 v18, v14, v17, -v18
	v_mul_f32_e32 v17, -4.0, v20
	v_mul_f32_e64 v17, v17, |v19|
	v_fmac_f32_e32 v17, v18, v18
	v_mul_f32_e64 v21, |v17|, s91
	v_cmp_lt_f32_e64 vcc, |v17|, s37
	v_cndmask_b32_e64 v17, |v17|, v21, vcc
	v_sqrt_f32_e32 v21, v17
	v_add_u32_e32 v22, -1, v21
	v_fma_f32 v23, -v22, v21, v17
	v_cmp_ge_f32_e64 s[12:13], 0, v23
	v_add_u32_e32 v23, 1, v21
	v_cndmask_b32_e64 v22, v21, v22, s[12:13]
	v_fma_f32 v21, -v23, v21, v17
	v_cmp_lt_f32_e64 s[12:13], 0, v21
	v_cndmask_b32_e64 v21, v22, v23, s[12:13]
	v_mul_f32_e32 v22, 0x37800000, v21
	v_cndmask_b32_e32 v21, v21, v22, vcc
	v_cmp_class_f32_e32 vcc, v17, v29
	v_cndmask_b32_e32 v21, v21, v17, vcc
	v_cmp_le_f32_e32 vcc, 0, v18
                                        ; implicit-def: $vgpr17
	s_and_saveexec_b64 s[12:13], vcc
	s_xor_b64 s[12:13], exec, s[12:13]
	s_cbranch_execz .LBB7_198
; %bb.197:                              ;   in Loop: Header=BB7_44 Depth=2
	v_add_f32_e32 v17, v18, v21
	v_add_f32_e64 v18, |v19|, |v19|
	v_div_scale_f32 v19, s[72:73], v18, v18, v17
	v_div_scale_f32 v20, vcc, v17, v18, v17
	v_rcp_f32_e32 v21, v19
	v_fma_f32 v22, -v19, v21, 1.0
	v_fmac_f32_e32 v21, v22, v21
	v_mul_f32_e32 v22, v20, v21
	v_fma_f32 v23, -v19, v22, v20
	v_fmac_f32_e32 v22, v23, v21
	v_fma_f32 v19, -v19, v22, v20
	v_div_fmas_f32 v19, v19, v21, v22
                                        ; implicit-def: $vgpr20
                                        ; implicit-def: $vgpr21
	v_div_fixup_f32 v17, v19, v18, v17
                                        ; implicit-def: $vgpr18
.LBB7_198:                              ;   in Loop: Header=BB7_44 Depth=2
	s_andn2_saveexec_b64 s[12:13], s[12:13]
	s_cbranch_execz .LBB7_200
; %bb.199:                              ;   in Loop: Header=BB7_44 Depth=2
	v_add_f32_e32 v17, v20, v20
	v_sub_f32_e32 v18, v18, v21
	v_div_scale_f32 v19, s[72:73], v18, v18, v17
	v_div_scale_f32 v20, vcc, v17, v18, v17
	v_rcp_f32_e32 v21, v19
	v_fma_f32 v22, -v19, v21, 1.0
	v_fmac_f32_e32 v21, v22, v21
	v_mul_f32_e32 v22, v20, v21
	v_fma_f32 v23, -v19, v22, v20
	v_fmac_f32_e32 v22, v23, v21
	v_fma_f32 v19, -v19, v22, v20
	v_div_fmas_f32 v19, v19, v21, v22
	v_div_fixup_f32 v17, v19, v18, v17
.LBB7_200:                              ;   in Loop: Header=BB7_44 Depth=2
	s_or_b64 exec, exec, s[12:13]
.LBB7_201:                              ;   in Loop: Header=BB7_44 Depth=2
	s_or_saveexec_b64 s[12:13], s[70:71]
	s_and_b64 vcc, s[8:9], s[10:11]
	v_cndmask_b32_e32 v9, v9, v4, vcc
	s_xor_b64 exec, exec, s[12:13]
; %bb.202:                              ;   in Loop: Header=BB7_44 Depth=2
	v_sub_f32_e32 v17, v9, v4
; %bb.203:                              ;   in Loop: Header=BB7_44 Depth=2
	s_or_b64 exec, exec, s[12:13]
	v_mul_f32_e32 v18, v14, v17
	v_cmp_lt_f32_e32 vcc, 0, v18
	s_and_saveexec_b64 s[8:9], vcc
	s_cbranch_execz .LBB7_205
; %bb.204:                              ;   in Loop: Header=BB7_44 Depth=2
	v_div_scale_f32 v17, s[10:11], v15, v15, -v14
	v_div_scale_f32 v18, vcc, -v14, v15, -v14
	v_rcp_f32_e32 v19, v17
	v_fma_f32 v20, -v17, v19, 1.0
	v_fmac_f32_e32 v19, v20, v19
	v_mul_f32_e32 v20, v18, v19
	v_fma_f32 v21, -v17, v20, v18
	v_fmac_f32_e32 v20, v21, v19
	v_fma_f32 v17, -v17, v20, v18
	v_div_fmas_f32 v17, v17, v19, v20
	v_div_fixup_f32 v17, v17, v15, -v14
.LBB7_205:                              ;   in Loop: Header=BB7_44 Depth=2
	s_or_b64 exec, exec, s[8:9]
	v_cmp_lt_f32_e32 vcc, v16, v4
	v_cndmask_b32_e32 v15, v16, v4, vcc
	v_cmp_nge_f32_e32 vcc, 0, v14
	v_cndmask_b32_e32 v15, v15, v16, vcc
	v_add_f32_e32 v16, v4, v17
	v_cmp_gt_f32_e32 vcc, v16, v9
	v_cmp_lt_f32_e64 s[8:9], v16, v15
	s_or_b64 s[10:11], vcc, s[8:9]
	s_and_saveexec_b64 s[8:9], s[10:11]
	s_cbranch_execz .LBB7_211
; %bb.206:                              ;   in Loop: Header=BB7_44 Depth=2
	v_cmp_ngt_f32_e32 vcc, 0, v14
                                        ; implicit-def: $vgpr17
	s_and_saveexec_b64 s[10:11], vcc
	s_xor_b64 s[10:11], exec, s[10:11]
; %bb.207:                              ;   in Loop: Header=BB7_44 Depth=2
	v_sub_f32_e32 v14, v15, v4
	v_mul_f32_e32 v17, 0.5, v14
; %bb.208:                              ;   in Loop: Header=BB7_44 Depth=2
	s_andn2_saveexec_b64 s[10:11], s[10:11]
; %bb.209:                              ;   in Loop: Header=BB7_44 Depth=2
	v_sub_f32_e32 v14, v9, v4
	v_mul_f32_e32 v17, 0.5, v14
; %bb.210:                              ;   in Loop: Header=BB7_44 Depth=2
	s_or_b64 exec, exec, s[10:11]
.LBB7_211:                              ;   in Loop: Header=BB7_44 Depth=2
	s_or_b64 exec, exec, s[8:9]
	v_mov_b32_e32 v16, 0
	s_and_b64 vcc, exec, s[4:5]
	v_mov_b32_e32 v14, 0
	v_mov_b32_e32 v18, 0
	s_cbranch_vccnz .LBB7_215
; %bb.212:                              ;   in Loop: Header=BB7_44 Depth=2
	v_mov_b32_e32 v14, v8
	v_mov_b32_e32 v16, 0
	s_mov_b64 s[8:9], s[44:45]
	v_mov_b32_e32 v13, v7
	s_mov_b32 s10, s52
	v_mov_b32_e32 v19, 0
	v_mov_b32_e32 v18, 0
.LBB7_213:                              ;   Parent Loop BB7_4 Depth=1
                                        ;     Parent Loop BB7_44 Depth=2
                                        ; =>    This Inner Loop Header: Depth=3
	global_load_dword v20, v[13:14], off
	s_add_i32 s10, s10, -1
	s_waitcnt vmcnt(0)
	v_sub_f32_e32 v20, v20, v17
	global_store_dword v[13:14], v20, off
	global_load_dword v21, v2, s[8:9]
	s_add_u32 s8, s8, 4
	s_addc_u32 s9, s9, 0
	s_cmp_eq_u32 s10, 0
	s_waitcnt vmcnt(0)
	v_div_scale_f32 v22, s[12:13], v20, v20, v21
	v_div_scale_f32 v23, vcc, v21, v20, v21
	v_rcp_f32_e32 v34, v22
	v_fma_f32 v35, -v22, v34, 1.0
	v_fmac_f32_e32 v34, v35, v34
	v_mul_f32_e32 v35, v23, v34
	v_fma_f32 v36, -v22, v35, v23
	v_fmac_f32_e32 v35, v36, v34
	v_fma_f32 v22, -v22, v35, v23
	v_div_fmas_f32 v22, v22, v34, v35
	v_add_co_u32_e32 v13, vcc, 4, v13
	v_addc_co_u32_e32 v14, vcc, 0, v14, vcc
	v_div_fixup_f32 v20, v22, v20, v21
	v_fmac_f32_e32 v18, v21, v20
	v_fmac_f32_e32 v16, v20, v20
	v_add_f32_e32 v19, v19, v18
	s_cbranch_scc0 .LBB7_213
; %bb.214:                              ;   in Loop: Header=BB7_44 Depth=2
	global_load_dword v13, v[11:12], off offset:-4
	v_and_b32_e32 v14, 0x7fffffff, v19
.LBB7_215:                              ;   in Loop: Header=BB7_44 Depth=2
	s_waitcnt vmcnt(0)
	v_sub_f32_e32 v13, v13, v17
	global_store_dword v[11:12], v13, off offset:-4
	global_load_dword v19, v2, s[58:59] offset:-4
	v_add_f32_e32 v4, v4, v17
	s_waitcnt vmcnt(0)
	v_div_scale_f32 v20, s[8:9], v13, v13, v19
	v_div_scale_f32 v21, vcc, v19, v13, v19
	v_rcp_f32_e32 v22, v20
	v_fma_f32 v23, -v20, v22, 1.0
	v_fmac_f32_e32 v22, v23, v22
	v_mul_f32_e32 v23, v21, v22
	v_fma_f32 v34, -v20, v23, v21
	v_fmac_f32_e32 v23, v34, v22
	v_fma_f32 v20, -v20, v23, v21
	v_div_fmas_f32 v20, v20, v22, v23
	v_add_f32_e32 v21, v32, v18
	v_div_fixup_f32 v17, v20, v13, v19
	v_fma_f32 v19, v19, v17, 0
	v_add_f32_e32 v18, v18, v19
	v_fma_f32 v20, v17, v17, v16
	v_mul_f32_e32 v18, 0xc1000000, v18
	v_fma_f32 v18, |v4|, v20, v18
	v_sub_f32_e32 v18, v18, v19
	v_add_f32_e32 v22, v14, v19
	v_add_f32_e32 v18, v32, v18
	;; [unrolled: 1-line block ×4, first 2 shown]
	v_mul_f32_e32 v18, s87, v18
	v_cmp_nle_f32_e64 s[8:9], |v14|, v18
	s_and_saveexec_b64 s[10:11], s[8:9]
	s_cbranch_execz .LBB7_235
; %bb.216:                              ;   in Loop: Header=BB7_44 Depth=2
	v_mul_f32_e32 v17, v17, v17
	s_mov_b32 s26, 1
	s_mov_b64 s[12:13], 0
	s_branch .LBB7_218
.LBB7_217:                              ;   in Loop: Header=BB7_218 Depth=3
	s_waitcnt vmcnt(0)
	v_sub_f32_e32 v13, v13, v17
	global_store_dword v[11:12], v13, off offset:-4
	global_load_dword v19, v2, s[58:59] offset:-4
	v_add_f32_e32 v4, v4, v17
	s_add_i32 s36, s26, 1
	s_cmp_gt_u32 s26, 48
	s_mov_b32 s26, s36
	s_waitcnt vmcnt(0)
	v_div_scale_f32 v20, s[8:9], v13, v13, v19
	v_div_scale_f32 v21, vcc, v19, v13, v19
	s_cselect_b64 s[8:9], -1, 0
	v_rcp_f32_e32 v22, v20
	v_fma_f32 v23, -v20, v22, 1.0
	v_fmac_f32_e32 v22, v23, v22
	v_mul_f32_e32 v23, v21, v22
	v_fma_f32 v34, -v20, v23, v21
	v_fmac_f32_e32 v23, v34, v22
	v_fma_f32 v20, -v20, v23, v21
	v_div_fmas_f32 v20, v20, v22, v23
	v_add_f32_e32 v21, v32, v18
	v_div_fixup_f32 v20, v20, v13, v19
	v_fma_f32 v19, v19, v20, 0
	v_add_f32_e32 v18, v18, v19
	v_mul_f32_e32 v17, v20, v20
	v_fma_f32 v20, v20, v20, v16
	v_mul_f32_e32 v18, 0xc1000000, v18
	v_fma_f32 v18, |v4|, v20, v18
	v_sub_f32_e32 v18, v18, v19
	v_add_f32_e32 v22, v14, v19
	v_add_f32_e32 v18, v32, v18
	;; [unrolled: 1-line block ×4, first 2 shown]
	v_mul_f32_e32 v18, s87, v18
	v_cmp_le_f32_e64 s[70:71], |v14|, v18
	s_or_b64 s[8:9], s[8:9], s[70:71]
	s_and_b64 s[8:9], exec, s[8:9]
	s_or_b64 s[12:13], s[8:9], s[12:13]
	s_andn2_b64 exec, exec, s[12:13]
	s_cbranch_execz .LBB7_234
.LBB7_218:                              ;   Parent Loop BB7_4 Depth=1
                                        ;     Parent Loop BB7_44 Depth=2
                                        ; =>    This Loop Header: Depth=3
                                        ;         Child Loop BB7_232 Depth 4
	global_load_dword v19, v[11:12], off offset:-8
	v_add_f32_e32 v18, v17, v16
	s_waitcnt vmcnt(0)
	v_fma_f32 v16, -v16, v19, v14
	v_add_f32_e32 v21, v13, v19
	v_mul_f32_e32 v19, v13, v19
	v_fma_f32 v20, -v13, v17, v16
	v_mul_f32_e32 v16, v18, v19
	v_mul_f32_e32 v19, v14, v19
	v_mul_f32_e32 v17, -4.0, v19
	v_fma_f32 v16, v14, v21, -v16
	v_mul_f32_e32 v17, v17, v20
	v_fmac_f32_e32 v17, v16, v16
	v_mul_f32_e64 v21, |v17|, s91
	v_cmp_lt_f32_e64 vcc, |v17|, s37
	v_cndmask_b32_e64 v17, |v17|, v21, vcc
	v_sqrt_f32_e32 v21, v17
	v_add_u32_e32 v22, -1, v21
	v_add_u32_e32 v23, 1, v21
	v_fma_f32 v34, -v22, v21, v17
	v_fma_f32 v35, -v23, v21, v17
	v_cmp_ge_f32_e64 s[8:9], 0, v34
	v_cndmask_b32_e64 v21, v21, v22, s[8:9]
	v_cmp_lt_f32_e64 s[8:9], 0, v35
	v_cndmask_b32_e64 v21, v21, v23, s[8:9]
	v_mul_f32_e32 v22, 0x37800000, v21
	v_cndmask_b32_e32 v21, v21, v22, vcc
	v_cmp_class_f32_e32 vcc, v17, v29
	v_cndmask_b32_e32 v21, v21, v17, vcc
	v_cmp_le_f32_e32 vcc, 0, v16
                                        ; implicit-def: $vgpr17
	s_and_saveexec_b64 s[8:9], vcc
	s_xor_b64 s[8:9], exec, s[8:9]
	s_cbranch_execz .LBB7_220
; %bb.219:                              ;   in Loop: Header=BB7_218 Depth=3
	v_add_f32_e32 v16, v16, v21
	v_add_f32_e32 v17, v20, v20
	v_div_scale_f32 v19, s[70:71], v17, v17, v16
	v_div_scale_f32 v20, vcc, v16, v17, v16
	v_rcp_f32_e32 v21, v19
	v_fma_f32 v22, -v19, v21, 1.0
	v_fmac_f32_e32 v21, v22, v21
	v_mul_f32_e32 v22, v20, v21
	v_fma_f32 v23, -v19, v22, v20
	v_fmac_f32_e32 v22, v23, v21
	v_fma_f32 v19, -v19, v22, v20
	v_div_fmas_f32 v19, v19, v21, v22
                                        ; implicit-def: $vgpr21
	v_div_fixup_f32 v17, v19, v17, v16
                                        ; implicit-def: $vgpr19
                                        ; implicit-def: $vgpr16
.LBB7_220:                              ;   in Loop: Header=BB7_218 Depth=3
	s_andn2_saveexec_b64 s[8:9], s[8:9]
	s_cbranch_execz .LBB7_222
; %bb.221:                              ;   in Loop: Header=BB7_218 Depth=3
	v_add_f32_e32 v17, v19, v19
	v_sub_f32_e32 v16, v16, v21
	v_div_scale_f32 v19, s[70:71], v16, v16, v17
	v_div_scale_f32 v20, vcc, v17, v16, v17
	v_rcp_f32_e32 v21, v19
	v_fma_f32 v22, -v19, v21, 1.0
	v_fmac_f32_e32 v21, v22, v21
	v_mul_f32_e32 v22, v20, v21
	v_fma_f32 v23, -v19, v22, v20
	v_fmac_f32_e32 v22, v23, v21
	v_fma_f32 v19, -v19, v22, v20
	v_div_fmas_f32 v19, v19, v21, v22
	v_div_fixup_f32 v17, v19, v16, v17
.LBB7_222:                              ;   in Loop: Header=BB7_218 Depth=3
	s_or_b64 exec, exec, s[8:9]
	v_mul_f32_e32 v16, v14, v17
	v_cmp_lt_f32_e32 vcc, 0, v16
	s_and_saveexec_b64 s[8:9], vcc
	s_cbranch_execz .LBB7_224
; %bb.223:                              ;   in Loop: Header=BB7_218 Depth=3
	v_div_scale_f32 v16, s[70:71], v18, v18, -v14
	v_div_scale_f32 v17, vcc, -v14, v18, -v14
	v_rcp_f32_e32 v19, v16
	v_fma_f32 v20, -v16, v19, 1.0
	v_fmac_f32_e32 v19, v20, v19
	v_mul_f32_e32 v20, v17, v19
	v_fma_f32 v21, -v16, v20, v17
	v_fmac_f32_e32 v20, v21, v19
	v_fma_f32 v16, -v16, v20, v17
	v_div_fmas_f32 v16, v16, v19, v20
	v_div_fixup_f32 v17, v16, v18, -v14
.LBB7_224:                              ;   in Loop: Header=BB7_218 Depth=3
	s_or_b64 exec, exec, s[8:9]
	v_cmp_lt_f32_e32 vcc, v15, v4
	v_cndmask_b32_e32 v16, v15, v4, vcc
	v_cmp_nge_f32_e32 vcc, 0, v14
	v_cndmask_b32_e32 v15, v16, v15, vcc
	v_cmp_lt_f32_e32 vcc, 0, v14
	v_cmp_lt_f32_e64 s[8:9], v4, v9
	s_and_b64 vcc, vcc, s[8:9]
	v_cndmask_b32_e32 v9, v9, v4, vcc
	v_add_f32_e32 v16, v4, v17
	v_cmp_gt_f32_e32 vcc, v16, v9
	v_cmp_lt_f32_e64 s[8:9], v16, v15
	s_or_b64 s[70:71], vcc, s[8:9]
	s_and_saveexec_b64 s[8:9], s[70:71]
	s_cbranch_execz .LBB7_230
; %bb.225:                              ;   in Loop: Header=BB7_218 Depth=3
	v_cmp_ngt_f32_e32 vcc, 0, v14
                                        ; implicit-def: $vgpr17
	s_and_saveexec_b64 s[70:71], vcc
	s_xor_b64 s[70:71], exec, s[70:71]
; %bb.226:                              ;   in Loop: Header=BB7_218 Depth=3
	v_sub_f32_e32 v14, v15, v4
	v_mul_f32_e32 v17, 0.5, v14
; %bb.227:                              ;   in Loop: Header=BB7_218 Depth=3
	s_andn2_saveexec_b64 s[70:71], s[70:71]
; %bb.228:                              ;   in Loop: Header=BB7_218 Depth=3
	v_sub_f32_e32 v14, v9, v4
	v_mul_f32_e32 v17, 0.5, v14
; %bb.229:                              ;   in Loop: Header=BB7_218 Depth=3
	s_or_b64 exec, exec, s[70:71]
.LBB7_230:                              ;   in Loop: Header=BB7_218 Depth=3
	s_or_b64 exec, exec, s[8:9]
	v_mov_b32_e32 v16, 0
	s_and_b64 vcc, exec, s[4:5]
	v_mov_b32_e32 v14, 0
	v_mov_b32_e32 v18, 0
	s_cbranch_vccnz .LBB7_217
; %bb.231:                              ;   in Loop: Header=BB7_218 Depth=3
	v_mov_b32_e32 v14, v8
	v_mov_b32_e32 v16, 0
	s_mov_b64 s[8:9], s[44:45]
	v_mov_b32_e32 v13, v7
	s_mov_b32 s36, s52
	v_mov_b32_e32 v19, 0
	v_mov_b32_e32 v18, 0
.LBB7_232:                              ;   Parent Loop BB7_4 Depth=1
                                        ;     Parent Loop BB7_44 Depth=2
                                        ;       Parent Loop BB7_218 Depth=3
                                        ; =>      This Inner Loop Header: Depth=4
	global_load_dword v20, v[13:14], off
	s_add_i32 s36, s36, -1
	s_waitcnt vmcnt(0)
	v_sub_f32_e32 v20, v20, v17
	global_store_dword v[13:14], v20, off
	global_load_dword v21, v2, s[8:9]
	s_add_u32 s8, s8, 4
	s_addc_u32 s9, s9, 0
	s_cmp_eq_u32 s36, 0
	s_waitcnt vmcnt(0)
	v_div_scale_f32 v22, s[70:71], v20, v20, v21
	v_div_scale_f32 v23, vcc, v21, v20, v21
	v_rcp_f32_e32 v34, v22
	v_fma_f32 v35, -v22, v34, 1.0
	v_fmac_f32_e32 v34, v35, v34
	v_mul_f32_e32 v35, v23, v34
	v_fma_f32 v36, -v22, v35, v23
	v_fmac_f32_e32 v35, v36, v34
	v_fma_f32 v22, -v22, v35, v23
	v_div_fmas_f32 v22, v22, v34, v35
	v_add_co_u32_e32 v13, vcc, 4, v13
	v_addc_co_u32_e32 v14, vcc, 0, v14, vcc
	v_div_fixup_f32 v20, v22, v20, v21
	v_fmac_f32_e32 v18, v21, v20
	v_fmac_f32_e32 v16, v20, v20
	v_add_f32_e32 v19, v19, v18
	s_cbranch_scc0 .LBB7_232
; %bb.233:                              ;   in Loop: Header=BB7_218 Depth=3
	global_load_dword v13, v[11:12], off offset:-4
	v_and_b32_e32 v14, 0x7fffffff, v19
	s_branch .LBB7_217
.LBB7_234:                              ;   in Loop: Header=BB7_44 Depth=2
	s_or_b64 exec, exec, s[12:13]
.LBB7_235:                              ;   in Loop: Header=BB7_44 Depth=2
	s_or_b64 exec, exec, s[10:11]
.LBB7_236:                              ;   in Loop: Header=BB7_44 Depth=2
	s_or_b64 exec, exec, s[68:69]
	v_add_f32_e32 v35, v10, v4
	s_or_b64 exec, exec, s[14:15]
	global_store_dword v[5:6], v35, off
	s_and_b64 exec, exec, s[2:3]
	s_cbranch_execz .LBB7_43
.LBB7_237:                              ;   in Loop: Header=BB7_44 Depth=2
	v_xor_b32_e32 v4, 0x80000000, v35
	global_store_dword v[5:6], v4, off
	s_branch .LBB7_43
.LBB7_238:                              ;   in Loop: Header=BB7_4 Depth=1
	s_or_b64 exec, exec, s[48:49]
	s_waitcnt vmcnt(0)
	s_barrier
	s_and_saveexec_b64 s[2:3], s[0:1]
	s_cbranch_execz .LBB7_2
; %bb.239:                              ;   in Loop: Header=BB7_4 Depth=1
	s_add_u32 s4, s88, s46
	s_addc_u32 s5, s89, s47
	v_readlane_b32 s0, v54, 5
	s_add_u32 s6, s0, s46
	v_readlane_b32 s0, v54, 7
	s_addc_u32 s19, s0, s47
	v_readlane_b32 s0, v54, 23
	s_add_u32 s8, s0, s46
	v_readlane_b32 s0, v54, 24
	s_addc_u32 s9, s0, s47
	s_mov_b64 s[10:11], 0
	v_mov_b32_e32 v1, v0
	s_branch .LBB7_242
.LBB7_240:                              ;   in Loop: Header=BB7_242 Depth=2
	v_mul_f32_e64 v5, |v10|, s91
	v_cmp_lt_f32_e64 vcc, |v10|, s37
	v_cndmask_b32_e64 v5, |v10|, v5, vcc
	v_sqrt_f32_e32 v6, v5
	v_add_u32_e32 v7, -1, v6
	v_fma_f32 v9, -v7, v6, v5
	v_add_u32_e32 v8, 1, v6
	v_cmp_ge_f32_e64 s[0:1], 0, v9
	v_cndmask_b32_e64 v7, v6, v7, s[0:1]
	v_fma_f32 v6, -v8, v6, v5
	v_cmp_lt_f32_e64 s[0:1], 0, v6
	v_cndmask_b32_e64 v6, v7, v8, s[0:1]
	v_mul_f32_e32 v7, 0x37800000, v6
	v_cndmask_b32_e32 v6, v6, v7, vcc
	v_cmp_class_f32_e32 vcc, v5, v29
	v_cndmask_b32_e32 v5, v6, v5, vcc
.LBB7_241:                              ;   in Loop: Header=BB7_242 Depth=2
	v_mov_b32_e32 v6, s45
	v_add_co_u32_e32 v3, vcc, s44, v3
	v_addc_co_u32_e32 v4, vcc, v6, v4, vcc
	global_load_dword v6, v[3:4], off
	v_add_u32_e32 v1, s17, v1
	v_cmp_le_u32_e32 vcc, s42, v1
	s_or_b64 s[10:11], vcc, s[10:11]
	s_waitcnt vmcnt(0)
	v_cmp_gt_f32_e64 s[0:1], 0, v6
	v_cndmask_b32_e64 v5, v5, -v5, s[0:1]
	global_store_dword v[3:4], v5, off
	s_andn2_b64 exec, exec, s[10:11]
	s_cbranch_execz .LBB7_2
.LBB7_242:                              ;   Parent Loop BB7_4 Depth=1
                                        ; =>  This Loop Header: Depth=2
                                        ;       Child Loop BB7_246 Depth 3
	v_lshlrev_b64 v[3:4], 2, v[1:2]
	s_andn2_b64 vcc, exec, s[40:41]
	s_cbranch_vccnz .LBB7_249
; %bb.243:                              ;   in Loop: Header=BB7_242 Depth=2
	v_mov_b32_e32 v6, s19
	v_add_co_u32_e32 v5, vcc, s6, v3
	v_addc_co_u32_e32 v6, vcc, v6, v4, vcc
	v_mov_b32_e32 v10, 1.0
	s_mov_b32 s21, 0
	s_mov_b64 s[0:1], s[4:5]
	s_mov_b64 s[12:13], s[8:9]
	v_mov_b32_e32 v7, v1
	s_branch .LBB7_246
.LBB7_244:                              ;   in Loop: Header=BB7_246 Depth=3
	s_or_b64 exec, exec, s[14:15]
	s_waitcnt vmcnt(0)
	v_mul_f32_e32 v10, v10, v11
.LBB7_245:                              ;   in Loop: Header=BB7_246 Depth=3
	s_add_i32 s21, s21, 1
	s_add_u32 s12, s12, 4
	s_addc_u32 s13, s13, 0
	s_add_u32 s0, s0, 4
	s_addc_u32 s1, s1, 0
	s_cmp_eq_u32 s28, s21
	v_add_u32_e32 v7, s20, v7
	s_cbranch_scc1 .LBB7_240
.LBB7_246:                              ;   Parent Loop BB7_4 Depth=1
                                        ;     Parent Loop BB7_242 Depth=2
                                        ; =>    This Inner Loop Header: Depth=3
	global_load_dword v8, v2, s[12:13]
	s_waitcnt vmcnt(0)
	v_cmp_ne_u32_e32 vcc, 1, v8
	s_cbranch_vccnz .LBB7_245
; %bb.247:                              ;   in Loop: Header=BB7_246 Depth=3
	v_ashrrev_i32_e32 v8, 31, v7
	v_lshlrev_b64 v[8:9], 2, v[7:8]
	v_mov_b32_e32 v12, s31
	v_add_co_u32_e32 v11, vcc, s29, v8
	v_addc_co_u32_e32 v12, vcc, v12, v9, vcc
	global_load_dword v8, v[5:6], off offset:8
	s_nop 0
	global_load_dword v11, v[11:12], off
	s_waitcnt vmcnt(1)
	v_cmp_ne_u32_e32 vcc, s21, v8
	s_and_saveexec_b64 s[14:15], vcc
	s_cbranch_execz .LBB7_244
; %bb.248:                              ;   in Loop: Header=BB7_246 Depth=3
	v_ashrrev_i32_e32 v9, 31, v8
	v_lshlrev_b64 v[8:9], 2, v[8:9]
	v_mov_b32_e32 v12, s5
	v_add_co_u32_e32 v8, vcc, s4, v8
	v_addc_co_u32_e32 v9, vcc, v12, v9, vcc
	global_load_dword v12, v2, s[0:1]
	s_nop 0
	global_load_dword v8, v[8:9], off
	s_waitcnt vmcnt(0)
	v_sub_f32_e32 v8, v8, v12
	v_div_scale_f32 v9, s[46:47], v8, v8, v11
	v_div_scale_f32 v12, vcc, v11, v8, v11
	v_rcp_f32_e32 v13, v9
	v_fma_f32 v14, -v9, v13, 1.0
	v_fmac_f32_e32 v13, v14, v13
	v_mul_f32_e32 v14, v12, v13
	v_fma_f32 v15, -v9, v14, v12
	v_fmac_f32_e32 v14, v15, v13
	v_fma_f32 v9, -v9, v14, v12
	v_div_fmas_f32 v9, v9, v13, v14
	v_div_fixup_f32 v11, v9, v8, v11
	s_branch .LBB7_244
.LBB7_249:                              ;   in Loop: Header=BB7_242 Depth=2
	v_mov_b32_e32 v5, 1.0
	s_branch .LBB7_241
.LBB7_250:
	s_endpgm
	.section	.rodata,"a",@progbits
	.p2align	6, 0x0
	.amdhsa_kernel _ZN9rocsolver6v33100L25stedcj_mergeValues_kernelIfEEviiPT_lS3_lS3_S3_PiS2_S2_S2_
		.amdhsa_group_segment_fixed_size 0
		.amdhsa_private_segment_fixed_size 0
		.amdhsa_kernarg_size 336
		.amdhsa_user_sgpr_count 6
		.amdhsa_user_sgpr_private_segment_buffer 1
		.amdhsa_user_sgpr_dispatch_ptr 0
		.amdhsa_user_sgpr_queue_ptr 0
		.amdhsa_user_sgpr_kernarg_segment_ptr 1
		.amdhsa_user_sgpr_dispatch_id 0
		.amdhsa_user_sgpr_flat_scratch_init 0
		.amdhsa_user_sgpr_private_segment_size 0
		.amdhsa_uses_dynamic_stack 0
		.amdhsa_system_sgpr_private_segment_wavefront_offset 0
		.amdhsa_system_sgpr_workgroup_id_x 1
		.amdhsa_system_sgpr_workgroup_id_y 1
		.amdhsa_system_sgpr_workgroup_id_z 1
		.amdhsa_system_sgpr_workgroup_info 0
		.amdhsa_system_vgpr_workitem_id 0
		.amdhsa_next_free_vgpr 55
		.amdhsa_next_free_sgpr 96
		.amdhsa_reserve_vcc 1
		.amdhsa_reserve_flat_scratch 0
		.amdhsa_float_round_mode_32 0
		.amdhsa_float_round_mode_16_64 0
		.amdhsa_float_denorm_mode_32 3
		.amdhsa_float_denorm_mode_16_64 3
		.amdhsa_dx10_clamp 1
		.amdhsa_ieee_mode 1
		.amdhsa_fp16_overflow 0
		.amdhsa_exception_fp_ieee_invalid_op 0
		.amdhsa_exception_fp_denorm_src 0
		.amdhsa_exception_fp_ieee_div_zero 0
		.amdhsa_exception_fp_ieee_overflow 0
		.amdhsa_exception_fp_ieee_underflow 0
		.amdhsa_exception_fp_ieee_inexact 0
		.amdhsa_exception_int_div_zero 0
	.end_amdhsa_kernel
	.section	.text._ZN9rocsolver6v33100L25stedcj_mergeValues_kernelIfEEviiPT_lS3_lS3_S3_PiS2_S2_S2_,"axG",@progbits,_ZN9rocsolver6v33100L25stedcj_mergeValues_kernelIfEEviiPT_lS3_lS3_S3_PiS2_S2_S2_,comdat
.Lfunc_end7:
	.size	_ZN9rocsolver6v33100L25stedcj_mergeValues_kernelIfEEviiPT_lS3_lS3_S3_PiS2_S2_S2_, .Lfunc_end7-_ZN9rocsolver6v33100L25stedcj_mergeValues_kernelIfEEviiPT_lS3_lS3_S3_PiS2_S2_S2_
                                        ; -- End function
	.set _ZN9rocsolver6v33100L25stedcj_mergeValues_kernelIfEEviiPT_lS3_lS3_S3_PiS2_S2_S2_.num_vgpr, 55
	.set _ZN9rocsolver6v33100L25stedcj_mergeValues_kernelIfEEviiPT_lS3_lS3_S3_PiS2_S2_S2_.num_agpr, 0
	.set _ZN9rocsolver6v33100L25stedcj_mergeValues_kernelIfEEviiPT_lS3_lS3_S3_PiS2_S2_S2_.numbered_sgpr, 96
	.set _ZN9rocsolver6v33100L25stedcj_mergeValues_kernelIfEEviiPT_lS3_lS3_S3_PiS2_S2_S2_.num_named_barrier, 0
	.set _ZN9rocsolver6v33100L25stedcj_mergeValues_kernelIfEEviiPT_lS3_lS3_S3_PiS2_S2_S2_.private_seg_size, 0
	.set _ZN9rocsolver6v33100L25stedcj_mergeValues_kernelIfEEviiPT_lS3_lS3_S3_PiS2_S2_S2_.uses_vcc, 1
	.set _ZN9rocsolver6v33100L25stedcj_mergeValues_kernelIfEEviiPT_lS3_lS3_S3_PiS2_S2_S2_.uses_flat_scratch, 0
	.set _ZN9rocsolver6v33100L25stedcj_mergeValues_kernelIfEEviiPT_lS3_lS3_S3_PiS2_S2_S2_.has_dyn_sized_stack, 0
	.set _ZN9rocsolver6v33100L25stedcj_mergeValues_kernelIfEEviiPT_lS3_lS3_S3_PiS2_S2_S2_.has_recursion, 0
	.set _ZN9rocsolver6v33100L25stedcj_mergeValues_kernelIfEEviiPT_lS3_lS3_S3_PiS2_S2_S2_.has_indirect_call, 0
	.section	.AMDGPU.csdata,"",@progbits
; Kernel info:
; codeLenInByte = 13476
; TotalNumSgprs: 100
; NumVgprs: 55
; ScratchSize: 0
; MemoryBound: 0
; FloatMode: 240
; IeeeMode: 1
; LDSByteSize: 0 bytes/workgroup (compile time only)
; SGPRBlocks: 12
; VGPRBlocks: 13
; NumSGPRsForWavesPerEU: 100
; NumVGPRsForWavesPerEU: 55
; Occupancy: 4
; WaveLimiterHint : 1
; COMPUTE_PGM_RSRC2:SCRATCH_EN: 0
; COMPUTE_PGM_RSRC2:USER_SGPR: 6
; COMPUTE_PGM_RSRC2:TRAP_HANDLER: 0
; COMPUTE_PGM_RSRC2:TGID_X_EN: 1
; COMPUTE_PGM_RSRC2:TGID_Y_EN: 1
; COMPUTE_PGM_RSRC2:TGID_Z_EN: 1
; COMPUTE_PGM_RSRC2:TIDIG_COMP_CNT: 0
	.section	.text._ZN9rocsolver6v33100L26stedcj_mergeVectors_kernelILb0EfEEviiPT0_lS3_lS3_iilS3_S3_Pi,"axG",@progbits,_ZN9rocsolver6v33100L26stedcj_mergeVectors_kernelILb0EfEEviiPT0_lS3_lS3_iilS3_S3_Pi,comdat
	.globl	_ZN9rocsolver6v33100L26stedcj_mergeVectors_kernelILb0EfEEviiPT0_lS3_lS3_iilS3_S3_Pi ; -- Begin function _ZN9rocsolver6v33100L26stedcj_mergeVectors_kernelILb0EfEEviiPT0_lS3_lS3_iilS3_S3_Pi
	.p2align	8
	.type	_ZN9rocsolver6v33100L26stedcj_mergeVectors_kernelILb0EfEEviiPT0_lS3_lS3_iilS3_S3_Pi,@function
_ZN9rocsolver6v33100L26stedcj_mergeVectors_kernelILb0EfEEviiPT0_lS3_lS3_iilS3_S3_Pi: ; @_ZN9rocsolver6v33100L26stedcj_mergeVectors_kernelILb0EfEEviiPT0_lS3_lS3_iilS3_S3_Pi
; %bb.0:
	s_load_dwordx4 s[20:23], s[4:5], 0x28
	s_load_dwordx8 s[12:19], s[4:5], 0x38
	s_mov_b32 s10, s7
	s_waitcnt lgkmcnt(0)
	s_cmp_eq_u64 s[20:21], 0
	s_cbranch_scc1 .LBB8_2
; %bb.1:
	s_ashr_i32 s2, s8, 31
	s_mul_hi_u32 s3, s12, s8
	s_mul_i32 s2, s12, s2
	s_add_i32 s2, s3, s2
	s_mul_i32 s3, s13, s8
	s_add_i32 s3, s2, s3
	s_mul_i32 s2, s12, s8
	s_ashr_i32 s1, s22, 31
	s_lshl_b64 s[2:3], s[2:3], 2
	s_mov_b32 s0, s22
	s_add_u32 s2, s20, s2
	s_addc_u32 s3, s21, s3
	s_lshl_b64 s[0:1], s[0:1], 2
	s_add_u32 s12, s2, s0
	s_addc_u32 s13, s3, s1
	s_branch .LBB8_3
.LBB8_2:
                                        ; implicit-def: $sgpr12_sgpr13
.LBB8_3:
	s_load_dwordx2 s[20:21], s[4:5], 0x0
	s_waitcnt lgkmcnt(0)
	s_mul_i32 s0, s21, 5
	s_add_i32 s0, s0, 2
	s_mul_i32 s0, s0, s8
	s_ashr_i32 s1, s0, 31
	s_lshl_b64 s[2:3], s[0:1], 2
	s_add_u32 s7, s18, s2
	s_addc_u32 s22, s19, s3
	s_ashr_i32 s27, s21, 31
	s_mov_b32 s26, s21
	s_lshl_b64 s[28:29], s[26:27], 2
	s_add_u32 s24, s7, s28
	s_addc_u32 s25, s22, s29
	s_load_dword s33, s[24:25], 0x4
	s_waitcnt lgkmcnt(0)
	s_cmp_ge_i32 s10, s33
	s_cbranch_scc1 .LBB8_47
; %bb.4:
	s_add_u32 s34, s24, s28
	s_addc_u32 s35, s25, s29
	s_add_u32 s36, s34, s28
	s_load_dword s4, s[4:5], 0x64
	s_addc_u32 s37, s35, s29
	s_lshl_b32 s0, s8, 1
	s_mul_i32 s30, s21, s21
	s_mul_i32 s8, s0, s21
	;; [unrolled: 1-line block ×3, first 2 shown]
	s_ashr_i32 s1, s0, 31
	s_ashr_i32 s9, s8, 31
	s_lshl_b64 s[50:51], s[0:1], 2
	s_add_u32 s38, s16, s50
	s_addc_u32 s39, s17, s51
	s_waitcnt lgkmcnt(0)
	s_and_b32 s40, 0xffff, s4
	s_lshl_b32 s41, 2, s20
	s_not_b32 s42, s20
	s_cmp_gt_u32 s40, 1
	s_cselect_b64 s[4:5], -1, 0
	s_ashr_i32 s43, s6, 31
	s_abs_i32 s44, s6
	s_add_u32 s11, s28, s2
	s_addc_u32 s28, s29, s3
	s_add_u32 s11, s18, s11
	s_addc_u32 s28, s19, s28
	;; [unrolled: 2-line block ×3, first 2 shown]
	s_mul_i32 s28, s26, 12
	s_mul_hi_i32 s11, s26, 12
	s_add_u32 s28, s28, s2
	s_addc_u32 s11, s11, s3
	s_add_u32 s28, s18, s28
	s_addc_u32 s11, s19, s11
	s_mov_b32 s31, 0
	s_add_u32 s47, s28, 8
	s_addc_u32 s48, s11, 0
	s_lshl_b64 s[28:29], s[30:31], 2
	s_add_u32 s11, s50, s28
	s_addc_u32 s28, s51, s29
	s_add_u32 s49, s16, s11
	v_cvt_f32_u32_e32 v6, s41
	s_addc_u32 s50, s17, s28
	s_lshl_b32 s51, s40, 2
	s_lshl_b64 s[8:9], s[8:9], 2
	s_add_u32 s8, s14, s8
	v_lshlrev_b32_e32 v5, 2, v0
	s_addc_u32 s9, s15, s9
	v_mov_b32_e32 v4, s9
	v_add_co_u32_e32 v3, vcc, s8, v5
	s_lshl_b64 s[8:9], s[26:27], 4
	v_rcp_iflag_f32_e32 v6, v6
	s_add_u32 s2, s8, s2
	s_addc_u32 s3, s9, s3
	v_addc_co_u32_e32 v4, vcc, 0, v4, vcc
	s_add_u32 s2, s18, s2
	v_add_u32_e32 v1, 0, v5
	s_addc_u32 s3, s19, s3
	v_add_co_u32_e32 v8, vcc, s2, v5
	v_mul_f32_e32 v5, 0x4f7ffffe, v6
	v_mov_b32_e32 v7, s3
	v_cvt_u32_f32_e32 v5, v5
	v_addc_co_u32_e32 v7, vcc, 0, v7, vcc
	v_add_co_u32_e32 v6, vcc, 8, v8
	v_cmp_eq_u32_e64 s[0:1], 0, v0
	v_mov_b32_e32 v2, 0
	v_addc_co_u32_e32 v7, vcc, 0, v7, vcc
	s_mov_b32 s52, 0xf800000
	v_mov_b32_e32 v8, 0x260
                                        ; implicit-def: $vgpr9
	s_branch .LBB8_6
.LBB8_5:                                ;   in Loop: Header=BB8_6 Depth=1
	s_add_i32 s10, s10, 8
	s_cmp_ge_i32 s10, s33
	s_cbranch_scc1 .LBB8_47
.LBB8_6:                                ; =>This Loop Header: Depth=1
                                        ;     Child Loop BB8_14 Depth 2
                                        ;     Child Loop BB8_17 Depth 2
	;; [unrolled: 1-line block ×6, first 2 shown]
                                        ;       Child Loop BB8_35 Depth 3
                                        ;       Child Loop BB8_38 Depth 3
	s_ashr_i32 s11, s10, 31
	s_lshl_b64 s[2:3], s[10:11], 2
	s_add_u32 s8, s7, s2
	s_addc_u32 s9, s22, s3
	s_barrier
	s_load_dwordx2 s[2:3], s[8:9], 0x0
	s_mov_b32 s53, 0
	s_waitcnt lgkmcnt(0)
	s_sub_i32 s3, s3, s2
	s_cmp_lt_i32 s3, 3
	s_cbranch_scc1 .LBB8_11
; %bb.7:                                ;   in Loop: Header=BB8_6 Depth=1
	s_cmp_lt_u32 s3, 5
	s_mov_b32 s53, 1
	s_cbranch_scc1 .LBB8_11
; %bb.8:                                ;   in Loop: Header=BB8_6 Depth=1
	s_cmp_lt_u32 s3, 33
	s_mov_b32 s53, 2
	s_cbranch_scc1 .LBB8_11
; %bb.9:                                ;   in Loop: Header=BB8_6 Depth=1
	s_cmpk_lt_u32 s3, 0xe9
	s_mov_b32 s53, 4
	s_cbranch_scc1 .LBB8_11
; %bb.10:                               ;   in Loop: Header=BB8_6 Depth=1
	s_cmpk_lt_u32 s3, 0x128
	s_cselect_b32 s8, 5, 7
	s_cmpk_lt_u32 s3, 0x79b
	s_cselect_b32 s53, s8, 8
.LBB8_11:                               ;   in Loop: Header=BB8_6 Depth=1
	s_lshl_b32 s8, 1, s53
	v_cvt_f32_u32_e32 v10, s8
	s_add_i32 s3, s3, -1
	s_ashr_i32 s54, s3, 31
	s_add_i32 s3, s3, s54
	v_rcp_iflag_f32_e32 v10, v10
	s_sub_i32 s9, 0, s8
	s_xor_b32 s55, s3, s54
	v_mul_f32_e32 v10, 0x4f7ffffe, v10
	v_cvt_u32_f32_e32 v10, v10
	v_readfirstlane_b32 s3, v10
	s_mul_i32 s9, s9, s3
	s_mul_hi_u32 s9, s3, s9
	s_add_i32 s3, s3, s9
	s_mul_hi_u32 s3, s55, s3
	s_mul_i32 s11, s3, s8
	s_sub_i32 s11, s55, s11
	s_add_i32 s9, s3, 1
	s_sub_i32 s14, s11, s8
	s_cmp_ge_u32 s11, s8
	s_cselect_b32 s3, s9, s3
	s_cselect_b32 s11, s14, s11
	s_add_i32 s9, s3, 1
	s_cmp_ge_u32 s11, s8
	s_cselect_b32 s3, s9, s3
	s_xor_b32 s3, s3, s54
	s_sub_i32 s56, s3, s54
	s_add_i32 s56, s56, 1
	s_lshl_b32 s3, s56, s53
	s_cmp_ge_i32 s6, s3
	s_cselect_b64 s[8:9], -1, 0
	s_cmp_ge_i32 s20, s53
	s_cselect_b64 s[14:15], -1, 0
	s_or_b64 s[8:9], s[14:15], s[8:9]
	s_and_b64 vcc, exec, s[8:9]
	s_cbranch_vccnz .LBB8_5
; %bb.12:                               ;   in Loop: Header=BB8_6 Depth=1
	s_ashr_i32 s3, s2, 31
	s_lshl_b64 s[16:17], s[2:3], 2
	s_add_u32 s11, s24, s16
	s_addc_u32 s27, s25, s17
	s_add_u32 s28, s34, s16
	s_addc_u32 s29, s35, s17
	s_abs_i32 s2, s56
	v_cvt_f32_u32_e32 v10, s2
	s_sub_i32 s8, 0, s2
	s_ashr_i32 s3, s56, 31
	s_xor_b32 s3, s43, s3
	v_rcp_iflag_f32_e32 v10, v10
	v_readfirstlane_b32 s14, v5
	v_mul_f32_e32 v10, 0x4f7ffffe, v10
	v_cvt_u32_f32_e32 v10, v10
	v_readfirstlane_b32 s9, v10
	s_mul_i32 s8, s8, s9
	s_mul_hi_u32 s8, s9, s8
	s_add_i32 s9, s9, s8
	s_mul_hi_u32 s8, s44, s9
	s_mul_i32 s9, s8, s2
	s_sub_i32 s9, s44, s9
	s_add_i32 s15, s8, 1
	s_sub_i32 s18, s9, s2
	s_cmp_ge_u32 s9, s2
	s_cselect_b32 s8, s15, s8
	s_cselect_b32 s9, s18, s9
	s_add_i32 s15, s8, 1
	s_cmp_ge_u32 s9, s2
	s_cselect_b32 s2, s15, s8
	s_xor_b32 s2, s2, s3
	s_sub_i32 s2, s2, s3
	s_ashr_i32 s3, s2, 31
	s_lshl_b64 s[18:19], s[2:3], 2
	s_add_u32 s8, s28, s18
	s_addc_u32 s9, s29, s19
	s_sub_i32 s26, 0, s41
	s_mul_i32 s26, s26, s14
	s_add_i32 s15, s2, s3
	s_mul_hi_u32 s26, s14, s26
	s_xor_b32 s15, s15, s3
	s_add_i32 s14, s14, s26
	s_mul_hi_u32 s14, s15, s14
	s_mul_i32 s14, s14, s41
	s_sub_i32 s14, s15, s14
	s_sub_i32 s15, s14, s41
	s_cmp_ge_u32 s14, s41
	s_cselect_b32 s14, s15, s14
	s_sub_i32 s15, s14, s41
	s_cmp_ge_u32 s14, s41
	s_cselect_b32 s14, s15, s14
	s_xor_b32 s14, s14, s3
	s_sub_i32 s26, s14, s3
	s_sub_i32 s14, s2, s26
	s_ashr_i32 s15, s14, 31
	s_lshl_b64 s[14:15], s[14:15], 2
	s_add_u32 s28, s28, s14
	s_addc_u32 s29, s29, s15
	s_add_u32 s14, s11, s18
	s_addc_u32 s15, s27, s19
	s_load_dword s11, s[14:15], 0x8
	s_cmp_lt_i32 s26, 1
	s_cbranch_scc1 .LBB8_15
; %bb.13:                               ;   in Loop: Header=BB8_6 Depth=1
	s_add_i32 s3, s26, 1
	s_add_u32 s57, s16, s18
	s_addc_u32 s58, s17, s19
	s_ashr_i32 s27, s26, 31
	s_lshl_b64 s[30:31], s[26:27], 2
	s_sub_u32 s27, s57, s30
	s_subb_u32 s31, s58, s31
	s_add_u32 s30, s45, s27
	s_addc_u32 s31, s46, s31
.LBB8_14:                               ;   Parent Loop BB8_6 Depth=1
                                        ; =>  This Inner Loop Header: Depth=2
	s_load_dword s27, s[30:31], 0x0
	s_add_i32 s3, s3, -1
	s_waitcnt lgkmcnt(0)
	s_add_i32 s11, s27, s11
	s_add_u32 s30, s30, 4
	s_addc_u32 s31, s31, 0
	s_cmp_lt_u32 s3, 2
	s_cbranch_scc0 .LBB8_14
.LBB8_15:                               ;   in Loop: Header=BB8_6 Depth=1
	s_load_dword s3, s[8:9], 0x8
	s_nop 0
	s_load_dword s8, s[28:29], 0x8
	s_not_b32 s9, s26
	s_add_i32 s28, s41, s9
	s_cmp_lt_i32 s28, 1
	s_cbranch_scc1 .LBB8_18
; %bb.16:                               ;   in Loop: Header=BB8_6 Depth=1
	s_ashr_i32 s29, s28, 31
	s_lshl_b64 s[28:29], s[28:29], 2
	s_add_u32 s9, s16, s28
	s_addc_u32 s16, s17, s29
	s_add_u32 s9, s9, s18
	s_addc_u32 s17, s16, s19
	;; [unrolled: 2-line block ×3, first 2 shown]
	s_sub_i32 s9, s41, s26
.LBB8_17:                               ;   Parent Loop BB8_6 Depth=1
                                        ; =>  This Inner Loop Header: Depth=2
	s_load_dword s18, s[16:17], 0x0
	s_waitcnt lgkmcnt(0)
	s_add_i32 s11, s18, s11
	s_add_u32 s16, s16, -4
	s_addc_u32 s17, s17, -1
	s_add_i32 s9, s9, -1
	s_cmp_lt_u32 s9, 2
	s_cbranch_scc0 .LBB8_17
.LBB8_18:                               ;   in Loop: Header=BB8_6 Depth=1
	s_waitcnt lgkmcnt(0)
	s_ashr_i32 s9, s8, 31
	s_cmp_lt_i32 s11, 1
	s_cbranch_scc1 .LBB8_21
; %bb.19:                               ;   in Loop: Header=BB8_6 Depth=1
	s_lshl_b64 s[16:17], s[8:9], 2
	s_add_u32 s16, s47, s16
	s_addc_u32 s17, s48, s17
	s_mov_b32 s30, 0
	s_mov_b32 s18, s11
.LBB8_20:                               ;   Parent Loop BB8_6 Depth=1
                                        ; =>  This Inner Loop Header: Depth=2
	s_load_dword s19, s[16:17], 0x0
	s_waitcnt lgkmcnt(0)
	s_cmp_eq_u32 s19, 1
	s_cselect_b64 s[26:27], -1, 0
	s_cmp_lg_u64 s[26:27], 0
	s_addc_u32 s30, s30, 0
	s_add_i32 s18, s18, -1
	s_add_u32 s16, s16, 4
	s_addc_u32 s17, s17, 0
	s_cmp_eq_u32 s18, 0
	s_cbranch_scc0 .LBB8_20
	s_branch .LBB8_22
.LBB8_21:                               ;   in Loop: Header=BB8_6 Depth=1
	s_mov_b32 s30, 0
.LBB8_22:                               ;   in Loop: Header=BB8_6 Depth=1
	s_barrier
	s_load_dword s14, s[14:15], 0x8
	s_mul_i32 s2, s2, s56
	s_sub_i32 s2, s6, s2
	s_waitcnt lgkmcnt(0)
	s_cmp_lt_i32 s2, s14
	s_cbranch_scc0 .LBB8_5
; %bb.23:                               ;   in Loop: Header=BB8_6 Depth=1
	s_add_i32 s14, s2, s3
	s_ashr_i32 s15, s14, 31
	s_lshl_b64 s[2:3], s[14:15], 2
	s_add_u32 s16, s36, s2
	s_addc_u32 s17, s37, s3
	s_load_dword s15, s[16:17], 0x8
	s_mov_b64 s[2:3], -1
	v_cmp_gt_u32_e32 vcc, s30, v0
	s_waitcnt lgkmcnt(0)
	s_cmp_lg_u32 s15, 1
	s_cbranch_scc1 .LBB8_30
; %bb.24:                               ;   in Loop: Header=BB8_6 Depth=1
	v_mov_b32_e32 v9, 0
	s_and_saveexec_b64 s[18:19], vcc
	s_cbranch_execz .LBB8_28
; %bb.25:                               ;   in Loop: Header=BB8_6 Depth=1
	s_mul_i32 s2, s14, s21
	v_add_u32_e32 v9, s2, v0
	v_ashrrev_i32_e32 v10, 31, v9
	v_lshlrev_b64 v[10:11], 2, v[9:10]
	v_mov_b32_e32 v9, s50
	v_add_co_u32_e32 v10, vcc, s49, v10
	v_addc_co_u32_e32 v11, vcc, v9, v11, vcc
	s_lshl_b64 s[2:3], s[8:9], 2
	v_mov_b32_e32 v9, s3
	v_add_co_u32_e32 v12, vcc, s2, v3
	v_addc_co_u32_e32 v13, vcc, v4, v9, vcc
	v_mov_b32_e32 v9, 0
	s_mov_b64 s[26:27], 0
	s_mov_b64 s[28:29], 0
	v_mov_b32_e32 v14, v0
.LBB8_26:                               ;   Parent Loop BB8_6 Depth=1
                                        ; =>  This Inner Loop Header: Depth=2
	v_mov_b32_e32 v16, s29
	v_add_co_u32_e64 v17, s[2:3], s28, v12
	v_add_co_u32_e32 v15, vcc, s28, v10
	v_addc_co_u32_e64 v18, s[2:3], v13, v16, s[2:3]
	v_addc_co_u32_e32 v16, vcc, v11, v16, vcc
	global_load_dword v17, v[17:18], off
	s_nop 0
	global_load_dword v18, v[15:16], off
	v_add_u32_e32 v14, s40, v14
	s_add_u32 s28, s28, s51
	s_addc_u32 s29, s29, 0
	s_waitcnt vmcnt(0)
	v_div_scale_f32 v19, s[2:3], v18, v18, v17
	v_div_scale_f32 v20, vcc, v17, v18, v17
	v_rcp_f32_e32 v21, v19
	v_fma_f32 v22, -v19, v21, 1.0
	v_fmac_f32_e32 v21, v22, v21
	v_mul_f32_e32 v22, v20, v21
	v_fma_f32 v23, -v19, v22, v20
	v_fmac_f32_e32 v22, v23, v21
	v_fma_f32 v19, -v19, v22, v20
	v_div_fmas_f32 v19, v19, v21, v22
	v_cmp_le_u32_e32 vcc, s30, v14
	s_or_b64 s[26:27], vcc, s[26:27]
	v_div_fixup_f32 v17, v19, v18, v17
	v_fmac_f32_e32 v9, v17, v17
	global_store_dword v[15:16], v17, off
	s_andn2_b64 exec, exec, s[26:27]
	s_cbranch_execnz .LBB8_26
; %bb.27:                               ;   in Loop: Header=BB8_6 Depth=1
	s_or_b64 exec, exec, s[26:27]
.LBB8_28:                               ;   in Loop: Header=BB8_6 Depth=1
	s_or_b64 exec, exec, s[18:19]
	s_andn2_b64 vcc, exec, s[4:5]
	s_mov_b32 s15, s40
	ds_write_b32 v1, v9
	s_waitcnt vmcnt(0) lgkmcnt(0)
	s_barrier
	s_cbranch_vccz .LBB8_45
.LBB8_29:                               ;   in Loop: Header=BB8_6 Depth=1
	ds_read_b32 v9, v2
	s_load_dword s15, s[16:17], 0x8
	s_waitcnt lgkmcnt(0)
	v_mul_f32_e32 v10, 0x4f800000, v9
	v_cmp_gt_f32_e32 vcc, s52, v9
	v_cndmask_b32_e32 v9, v9, v10, vcc
	v_sqrt_f32_e32 v10, v9
	s_cmp_lg_u32 s15, 1
	v_add_u32_e32 v11, -1, v10
	v_add_u32_e32 v12, 1, v10
	v_fma_f32 v13, -v11, v10, v9
	v_fma_f32 v14, -v12, v10, v9
	v_cmp_ge_f32_e64 s[2:3], 0, v13
	v_cndmask_b32_e64 v10, v10, v11, s[2:3]
	v_cmp_lt_f32_e64 s[2:3], 0, v14
	v_cndmask_b32_e64 v10, v10, v12, s[2:3]
	v_mul_f32_e32 v11, 0x37800000, v10
	v_cndmask_b32_e32 v10, v10, v11, vcc
	v_cmp_class_f32_e32 vcc, v9, v8
	v_cndmask_b32_e32 v9, v10, v9, vcc
	s_cselect_b64 s[2:3], -1, 0
.LBB8_30:                               ;   in Loop: Header=BB8_6 Depth=1
	s_add_i32 s15, s53, s42
	s_lshl_b32 s15, 1, s15
	s_ashr_i32 s16, s15, 31
	s_add_i32 s15, s15, s16
	s_xor_b32 s15, s15, s16
	v_cvt_f32_u32_e32 v10, s15
	s_sub_i32 s17, 0, s15
	v_rcp_iflag_f32_e32 v10, v10
	v_mul_f32_e32 v10, 0x4f7ffffe, v10
	v_cvt_u32_f32_e32 v10, v10
	v_readfirstlane_b32 s18, v10
	s_mul_i32 s17, s17, s18
	s_mul_hi_u32 s17, s18, s17
	s_add_i32 s18, s18, s17
	s_mul_hi_u32 s17, s55, s18
	s_mul_i32 s19, s17, s15
	s_sub_i32 s19, s55, s19
	s_add_i32 s18, s17, 1
	s_sub_i32 s26, s19, s15
	s_cmp_ge_u32 s19, s15
	s_cselect_b32 s17, s18, s17
	s_cselect_b32 s19, s26, s19
	s_add_i32 s18, s17, 1
	s_cmp_ge_u32 s19, s15
	s_cselect_b32 s15, s18, s17
	s_xor_b32 s16, s54, s16
	s_xor_b32 s15, s15, s16
	s_sub_i32 s28, s15, s16
	s_cmp_lt_i32 s28, 0
	s_cselect_b64 s[16:17], -1, 0
	s_or_b64 s[2:3], s[2:3], s[16:17]
	s_and_b64 vcc, exec, s[2:3]
	s_cbranch_vccnz .LBB8_5
; %bb.31:                               ;   in Loop: Header=BB8_6 Depth=1
	s_mul_i32 s29, s14, s21
	v_add_u32_e32 v10, s29, v0
	v_ashrrev_i32_e32 v11, 31, v10
	v_lshlrev_b64 v[10:11], 2, v[10:11]
	v_mov_b32_e32 v12, s50
	v_add_co_u32_e32 v10, vcc, s49, v10
	v_addc_co_u32_e32 v11, vcc, v12, v11, vcc
	s_lshl_b64 s[14:15], s[8:9], 2
	v_mov_b32_e32 v13, s15
	v_add_co_u32_e32 v12, vcc, s14, v6
	v_cmp_gt_u32_e64 s[2:3], s30, v0
	v_addc_co_u32_e32 v13, vcc, v7, v13, vcc
	s_mov_b32 s9, 0
	s_branch .LBB8_33
.LBB8_32:                               ;   in Loop: Header=BB8_33 Depth=2
	s_or_b64 exec, exec, s[14:15]
	s_add_i32 s14, s9, 1
	s_cmp_lg_u32 s9, s28
	s_mov_b32 s9, s14
	s_waitcnt vmcnt(0)
	s_barrier
	s_cbranch_scc0 .LBB8_5
.LBB8_33:                               ;   Parent Loop BB8_6 Depth=1
                                        ; =>  This Loop Header: Depth=2
                                        ;       Child Loop BB8_35 Depth 3
                                        ;       Child Loop BB8_38 Depth 3
	s_add_i32 s31, s9, s8
	s_cmp_lt_i32 s9, s11
	s_cselect_b64 s[14:15], -1, 0
	s_and_b64 s[18:19], s[14:15], s[2:3]
	v_mov_b32_e32 v14, 0
	s_and_saveexec_b64 s[16:17], s[18:19]
	s_cbranch_execz .LBB8_37
; %bb.34:                               ;   in Loop: Header=BB8_33 Depth=2
	v_mov_b32_e32 v14, 0
	s_mov_b64 s[18:19], 0
	s_mov_b64 s[26:27], 0
	v_mov_b32_e32 v15, v0
.LBB8_35:                               ;   Parent Loop BB8_6 Depth=1
                                        ;     Parent Loop BB8_33 Depth=2
                                        ; =>    This Inner Loop Header: Depth=3
	v_mov_b32_e32 v18, s27
	v_add_co_u32_e32 v16, vcc, s26, v12
	v_addc_co_u32_e32 v17, vcc, v13, v18, vcc
	global_load_dword v19, v[16:17], off
	v_add_co_u32_e32 v16, vcc, s26, v10
	v_addc_co_u32_e32 v17, vcc, v11, v18, vcc
	v_mov_b32_e32 v20, s13
	v_add_u32_e32 v15, s40, v15
	s_add_u32 s26, s26, s51
	s_addc_u32 s27, s27, 0
	s_waitcnt vmcnt(0)
	v_add_u32_e32 v18, s8, v19
	v_mul_lo_u32 v18, v18, s23
	global_load_dword v19, v[16:17], off
	v_add_u32_e32 v16, s31, v18
	v_ashrrev_i32_e32 v17, 31, v16
	v_lshlrev_b64 v[16:17], 2, v[16:17]
	v_add_co_u32_e32 v16, vcc, s12, v16
	v_addc_co_u32_e32 v17, vcc, v20, v17, vcc
	global_load_dword v16, v[16:17], off
	v_cmp_le_u32_e32 vcc, s30, v15
	s_or_b64 s[18:19], vcc, s[18:19]
	s_waitcnt vmcnt(0)
	v_fmac_f32_e32 v14, v16, v19
	s_andn2_b64 exec, exec, s[18:19]
	s_cbranch_execnz .LBB8_35
; %bb.36:                               ;   in Loop: Header=BB8_33 Depth=2
	s_or_b64 exec, exec, s[18:19]
.LBB8_37:                               ;   in Loop: Header=BB8_33 Depth=2
	s_or_b64 exec, exec, s[16:17]
	s_andn2_b64 vcc, exec, s[4:5]
	s_mov_b32 s18, s40
	ds_write_b32 v1, v14
	s_waitcnt lgkmcnt(0)
	s_barrier
	s_cbranch_vccnz .LBB8_42
.LBB8_38:                               ;   Parent Loop BB8_6 Depth=1
                                        ;     Parent Loop BB8_33 Depth=2
                                        ; =>    This Inner Loop Header: Depth=3
	s_lshr_b32 s19, s18, 1
	v_cmp_gt_u32_e32 vcc, s19, v0
	s_and_b64 s[26:27], s[14:15], vcc
	s_and_saveexec_b64 s[16:17], s[26:27]
	s_cbranch_execz .LBB8_40
; %bb.39:                               ;   in Loop: Header=BB8_38 Depth=3
	v_lshl_add_u32 v15, s19, 2, v1
	ds_read_b32 v15, v15
	s_waitcnt lgkmcnt(0)
	v_add_f32_e32 v14, v14, v15
	ds_write_b32 v1, v14
.LBB8_40:                               ;   in Loop: Header=BB8_38 Depth=3
	s_or_b64 exec, exec, s[16:17]
	s_cmp_lt_u32 s18, 4
	s_waitcnt lgkmcnt(0)
	s_barrier
	s_cbranch_scc1 .LBB8_42
; %bb.41:                               ;   in Loop: Header=BB8_38 Depth=3
	s_mov_b32 s18, s19
	s_branch .LBB8_38
.LBB8_42:                               ;   in Loop: Header=BB8_33 Depth=2
	s_and_b64 s[16:17], s[0:1], s[14:15]
	s_and_saveexec_b64 s[14:15], s[16:17]
	s_cbranch_execz .LBB8_32
; %bb.43:                               ;   in Loop: Header=BB8_33 Depth=2
	v_div_scale_f32 v15, s[16:17], v9, v9, v14
	v_div_scale_f32 v16, vcc, v14, v9, v14
	s_add_i32 s16, s31, s29
	s_ashr_i32 s17, s16, 31
	s_lshl_b64 s[16:17], s[16:17], 2
	s_add_u32 s16, s38, s16
	s_addc_u32 s17, s39, s17
	v_rcp_f32_e32 v17, v15
	v_fma_f32 v18, -v15, v17, 1.0
	v_fmac_f32_e32 v17, v18, v17
	v_mul_f32_e32 v18, v16, v17
	v_fma_f32 v19, -v15, v18, v16
	v_fmac_f32_e32 v18, v19, v17
	v_fma_f32 v15, -v15, v18, v16
	v_div_fmas_f32 v15, v15, v17, v18
	v_div_fixup_f32 v14, v15, v9, v14
	global_store_dword v2, v14, s[16:17]
	s_branch .LBB8_32
.LBB8_44:                               ;   in Loop: Header=BB8_45 Depth=2
	s_or_b64 exec, exec, s[2:3]
	s_cmp_lt_u32 s15, 4
	s_mov_b32 s15, s18
	s_waitcnt lgkmcnt(0)
	s_barrier
	s_cbranch_scc1 .LBB8_29
.LBB8_45:                               ;   Parent Loop BB8_6 Depth=1
                                        ; =>  This Inner Loop Header: Depth=2
	s_lshr_b32 s18, s15, 1
	v_cmp_gt_u32_e32 vcc, s18, v0
	s_and_saveexec_b64 s[2:3], vcc
	s_cbranch_execz .LBB8_44
; %bb.46:                               ;   in Loop: Header=BB8_45 Depth=2
	v_lshl_add_u32 v10, s18, 2, v1
	ds_read_b32 v10, v10
	s_waitcnt lgkmcnt(0)
	v_add_f32_e32 v9, v9, v10
	ds_write_b32 v1, v9
	s_branch .LBB8_44
.LBB8_47:
	s_endpgm
	.section	.rodata,"a",@progbits
	.p2align	6, 0x0
	.amdhsa_kernel _ZN9rocsolver6v33100L26stedcj_mergeVectors_kernelILb0EfEEviiPT0_lS3_lS3_iilS3_S3_Pi
		.amdhsa_group_segment_fixed_size 0
		.amdhsa_private_segment_fixed_size 0
		.amdhsa_kernarg_size 344
		.amdhsa_user_sgpr_count 6
		.amdhsa_user_sgpr_private_segment_buffer 1
		.amdhsa_user_sgpr_dispatch_ptr 0
		.amdhsa_user_sgpr_queue_ptr 0
		.amdhsa_user_sgpr_kernarg_segment_ptr 1
		.amdhsa_user_sgpr_dispatch_id 0
		.amdhsa_user_sgpr_flat_scratch_init 0
		.amdhsa_user_sgpr_private_segment_size 0
		.amdhsa_uses_dynamic_stack 0
		.amdhsa_system_sgpr_private_segment_wavefront_offset 0
		.amdhsa_system_sgpr_workgroup_id_x 1
		.amdhsa_system_sgpr_workgroup_id_y 1
		.amdhsa_system_sgpr_workgroup_id_z 1
		.amdhsa_system_sgpr_workgroup_info 0
		.amdhsa_system_vgpr_workitem_id 0
		.amdhsa_next_free_vgpr 24
		.amdhsa_next_free_sgpr 59
		.amdhsa_reserve_vcc 1
		.amdhsa_reserve_flat_scratch 0
		.amdhsa_float_round_mode_32 0
		.amdhsa_float_round_mode_16_64 0
		.amdhsa_float_denorm_mode_32 3
		.amdhsa_float_denorm_mode_16_64 3
		.amdhsa_dx10_clamp 1
		.amdhsa_ieee_mode 1
		.amdhsa_fp16_overflow 0
		.amdhsa_exception_fp_ieee_invalid_op 0
		.amdhsa_exception_fp_denorm_src 0
		.amdhsa_exception_fp_ieee_div_zero 0
		.amdhsa_exception_fp_ieee_overflow 0
		.amdhsa_exception_fp_ieee_underflow 0
		.amdhsa_exception_fp_ieee_inexact 0
		.amdhsa_exception_int_div_zero 0
	.end_amdhsa_kernel
	.section	.text._ZN9rocsolver6v33100L26stedcj_mergeVectors_kernelILb0EfEEviiPT0_lS3_lS3_iilS3_S3_Pi,"axG",@progbits,_ZN9rocsolver6v33100L26stedcj_mergeVectors_kernelILb0EfEEviiPT0_lS3_lS3_iilS3_S3_Pi,comdat
.Lfunc_end8:
	.size	_ZN9rocsolver6v33100L26stedcj_mergeVectors_kernelILb0EfEEviiPT0_lS3_lS3_iilS3_S3_Pi, .Lfunc_end8-_ZN9rocsolver6v33100L26stedcj_mergeVectors_kernelILb0EfEEviiPT0_lS3_lS3_iilS3_S3_Pi
                                        ; -- End function
	.set _ZN9rocsolver6v33100L26stedcj_mergeVectors_kernelILb0EfEEviiPT0_lS3_lS3_iilS3_S3_Pi.num_vgpr, 24
	.set _ZN9rocsolver6v33100L26stedcj_mergeVectors_kernelILb0EfEEviiPT0_lS3_lS3_iilS3_S3_Pi.num_agpr, 0
	.set _ZN9rocsolver6v33100L26stedcj_mergeVectors_kernelILb0EfEEviiPT0_lS3_lS3_iilS3_S3_Pi.numbered_sgpr, 59
	.set _ZN9rocsolver6v33100L26stedcj_mergeVectors_kernelILb0EfEEviiPT0_lS3_lS3_iilS3_S3_Pi.num_named_barrier, 0
	.set _ZN9rocsolver6v33100L26stedcj_mergeVectors_kernelILb0EfEEviiPT0_lS3_lS3_iilS3_S3_Pi.private_seg_size, 0
	.set _ZN9rocsolver6v33100L26stedcj_mergeVectors_kernelILb0EfEEviiPT0_lS3_lS3_iilS3_S3_Pi.uses_vcc, 1
	.set _ZN9rocsolver6v33100L26stedcj_mergeVectors_kernelILb0EfEEviiPT0_lS3_lS3_iilS3_S3_Pi.uses_flat_scratch, 0
	.set _ZN9rocsolver6v33100L26stedcj_mergeVectors_kernelILb0EfEEviiPT0_lS3_lS3_iilS3_S3_Pi.has_dyn_sized_stack, 0
	.set _ZN9rocsolver6v33100L26stedcj_mergeVectors_kernelILb0EfEEviiPT0_lS3_lS3_iilS3_S3_Pi.has_recursion, 0
	.set _ZN9rocsolver6v33100L26stedcj_mergeVectors_kernelILb0EfEEviiPT0_lS3_lS3_iilS3_S3_Pi.has_indirect_call, 0
	.section	.AMDGPU.csdata,"",@progbits
; Kernel info:
; codeLenInByte = 2460
; TotalNumSgprs: 63
; NumVgprs: 24
; ScratchSize: 0
; MemoryBound: 0
; FloatMode: 240
; IeeeMode: 1
; LDSByteSize: 0 bytes/workgroup (compile time only)
; SGPRBlocks: 7
; VGPRBlocks: 5
; NumSGPRsForWavesPerEU: 63
; NumVGPRsForWavesPerEU: 24
; Occupancy: 10
; WaveLimiterHint : 1
; COMPUTE_PGM_RSRC2:SCRATCH_EN: 0
; COMPUTE_PGM_RSRC2:USER_SGPR: 6
; COMPUTE_PGM_RSRC2:TRAP_HANDLER: 0
; COMPUTE_PGM_RSRC2:TGID_X_EN: 1
; COMPUTE_PGM_RSRC2:TGID_Y_EN: 1
; COMPUTE_PGM_RSRC2:TGID_Z_EN: 1
; COMPUTE_PGM_RSRC2:TIDIG_COMP_CNT: 0
	.section	.text._ZN9rocsolver6v33100L25stedcj_mergeUpdate_kernelIfEEviiPT_lS3_iilS3_S3_Pi,"axG",@progbits,_ZN9rocsolver6v33100L25stedcj_mergeUpdate_kernelIfEEviiPT_lS3_iilS3_S3_Pi,comdat
	.globl	_ZN9rocsolver6v33100L25stedcj_mergeUpdate_kernelIfEEviiPT_lS3_iilS3_S3_Pi ; -- Begin function _ZN9rocsolver6v33100L25stedcj_mergeUpdate_kernelIfEEviiPT_lS3_iilS3_S3_Pi
	.p2align	8
	.type	_ZN9rocsolver6v33100L25stedcj_mergeUpdate_kernelIfEEviiPT_lS3_iilS3_S3_Pi,@function
_ZN9rocsolver6v33100L25stedcj_mergeUpdate_kernelIfEEviiPT_lS3_iilS3_S3_Pi: ; @_ZN9rocsolver6v33100L25stedcj_mergeUpdate_kernelIfEEviiPT_lS3_iilS3_S3_Pi
; %bb.0:
	s_load_dwordx4 s[0:3], s[4:5], 0x18
	s_load_dwordx8 s[12:19], s[4:5], 0x28
	s_mov_b32 s10, s7
	s_mov_b64 s[20:21], 0
	s_waitcnt lgkmcnt(0)
	s_cmp_lg_u64 s[0:1], 0
	s_cbranch_scc0 .LBB9_27
; %bb.1:
	s_ashr_i32 s9, s8, 31
	s_ashr_i32 s23, s2, 31
	s_mov_b32 s22, s2
	s_mul_hi_u32 s2, s12, s8
	s_mul_i32 s7, s12, s9
	s_add_i32 s2, s2, s7
	s_mul_i32 s7, s13, s8
	s_add_i32 s13, s2, s7
	s_mul_i32 s12, s12, s8
	s_lshl_b64 s[12:13], s[12:13], 2
	s_add_u32 s2, s0, s12
	s_addc_u32 s7, s1, s13
	s_lshl_b64 s[0:1], s[22:23], 2
	s_add_u32 s12, s2, s0
	s_addc_u32 s13, s7, s1
	s_andn2_b64 vcc, exec, s[20:21]
	s_cbranch_vccnz .LBB9_3
.LBB9_2:
	s_ashr_i32 s9, s8, 31
                                        ; implicit-def: $sgpr12_sgpr13
.LBB9_3:
	s_load_dwordx2 s[20:21], s[4:5], 0x0
	s_waitcnt lgkmcnt(0)
	s_mul_i32 s0, s21, 5
	s_add_i32 s0, s0, 2
	s_mul_i32 s0, s0, s8
	s_ashr_i32 s1, s0, 31
	s_lshl_b64 s[24:25], s[0:1], 2
	s_add_u32 s2, s18, s24
	s_addc_u32 s7, s19, s25
	s_ashr_i32 s1, s21, 31
	s_mov_b32 s0, s21
	s_lshl_b64 s[26:27], s[0:1], 2
	s_add_u32 s22, s2, s26
	s_addc_u32 s23, s7, s27
	s_load_dword s28, s[22:23], 0x4
	s_waitcnt lgkmcnt(0)
	s_cmp_ge_i32 s10, s28
	s_cbranch_scc1 .LBB9_26
; %bb.4:
	s_load_dwordx4 s[36:39], s[4:5], 0x8
	s_load_dword s11, s[4:5], 0x54
	v_mov_b32_e32 v2, 0
	s_waitcnt lgkmcnt(0)
	s_mul_i32 s1, s38, s9
	s_mul_hi_u32 s4, s38, s8
	s_mul_i32 s5, s39, s8
	s_add_i32 s1, s4, s1
	s_mul_i32 s0, s38, s8
	s_add_i32 s1, s1, s5
	s_lshl_b64 s[0:1], s[0:1], 2
	s_add_u32 s29, s36, s0
	s_addc_u32 s30, s37, s1
	s_add_u32 s31, s22, s26
	s_addc_u32 s33, s23, s27
	s_add_u32 s34, s31, s26
	s_mul_i32 s0, s8, s21
	s_addc_u32 s35, s33, s27
	s_lshl_b32 s0, s0, 1
	s_ashr_i32 s1, s0, 31
	s_lshl_b64 s[4:5], s[0:1], 2
	s_add_u32 s1, s14, s4
	s_addc_u32 s4, s15, s5
	s_add_u32 s36, s1, s26
	s_addc_u32 s37, s4, s27
	s_lshl_b32 s39, 2, s20
	v_cvt_f32_u32_e32 v1, s39
	s_mul_i32 s4, s0, s21
	s_ashr_i32 s5, s4, 31
	s_and_b32 s38, 0xffff, s11
	s_ashr_i32 s40, s6, 31
	s_abs_i32 s41, s6
	v_rcp_iflag_f32_e32 v1, v1
	s_add_u32 s8, s26, s24
	s_addc_u32 s9, s27, s25
	s_add_u32 s8, s18, s8
	s_addc_u32 s9, s19, s9
	v_mul_f32_e32 v1, 0x4f7ffffe, v1
	s_add_u32 s24, s8, 8
	v_cvt_u32_f32_e32 v1, v1
	s_addc_u32 s25, s9, 0
	s_lshl_b32 s26, s38, 2
	s_lshl_b64 s[4:5], s[4:5], 2
	s_add_u32 s27, s16, s4
	v_cmp_eq_u32_e64 s[0:1], 0, v0
	s_addc_u32 s42, s17, s5
	s_branch .LBB9_7
.LBB9_5:                                ;   in Loop: Header=BB9_7 Depth=1
	s_or_b64 exec, exec, s[4:5]
.LBB9_6:                                ;   in Loop: Header=BB9_7 Depth=1
	s_add_i32 s10, s10, 8
	s_cmp_ge_i32 s10, s28
	s_cbranch_scc1 .LBB9_26
.LBB9_7:                                ; =>This Loop Header: Depth=1
                                        ;     Child Loop BB9_15 Depth 2
                                        ;     Child Loop BB9_18 Depth 2
	;; [unrolled: 1-line block ×3, first 2 shown]
	s_ashr_i32 s11, s10, 31
	s_lshl_b64 s[4:5], s[10:11], 2
	s_add_u32 s4, s2, s4
	s_addc_u32 s5, s7, s5
	s_waitcnt vmcnt(0)
	s_barrier
	global_load_dwordx2 v[3:4], v2, s[4:5]
	s_waitcnt vmcnt(0)
	v_readfirstlane_b32 s4, v3
	v_readfirstlane_b32 s5, v4
	s_sub_i32 s8, s5, s4
	s_cmp_lt_i32 s8, 3
	s_mov_b32 s5, 0
	s_cbranch_scc1 .LBB9_12
; %bb.8:                                ;   in Loop: Header=BB9_7 Depth=1
	s_cmp_lt_u32 s8, 5
	s_mov_b32 s5, 1
	s_cbranch_scc1 .LBB9_12
; %bb.9:                                ;   in Loop: Header=BB9_7 Depth=1
	s_cmp_lt_u32 s8, 33
	s_mov_b32 s5, 2
	s_cbranch_scc1 .LBB9_12
; %bb.10:                               ;   in Loop: Header=BB9_7 Depth=1
	s_cmpk_lt_u32 s8, 0xe9
	s_mov_b32 s5, 4
	s_cbranch_scc1 .LBB9_12
; %bb.11:                               ;   in Loop: Header=BB9_7 Depth=1
	s_cmpk_lt_u32 s8, 0x128
	s_cselect_b32 s5, 5, 7
	s_cmpk_lt_u32 s8, 0x79b
	s_cselect_b32 s5, s5, 8
.LBB9_12:                               ;   in Loop: Header=BB9_7 Depth=1
	s_lshl_b32 s9, 1, s5
	v_cvt_f32_u32_e32 v3, s9
	s_add_i32 s8, s8, -1
	s_sub_i32 s14, 0, s9
	s_ashr_i32 s11, s8, 31
	v_rcp_iflag_f32_e32 v3, v3
	s_add_i32 s8, s8, s11
	s_xor_b32 s8, s8, s11
	v_mul_f32_e32 v3, 0x4f7ffffe, v3
	v_cvt_u32_f32_e32 v3, v3
	v_readfirstlane_b32 s15, v3
	s_mul_i32 s14, s14, s15
	s_mul_hi_u32 s14, s15, s14
	s_add_i32 s15, s15, s14
	s_mul_hi_u32 s14, s8, s15
	s_mul_i32 s16, s14, s9
	s_sub_i32 s8, s8, s16
	s_add_i32 s15, s14, 1
	s_sub_i32 s16, s8, s9
	s_cmp_ge_u32 s8, s9
	s_cselect_b32 s14, s15, s14
	s_cselect_b32 s8, s16, s8
	s_add_i32 s15, s14, 1
	s_cmp_ge_u32 s8, s9
	s_cselect_b32 s8, s15, s14
	s_xor_b32 s8, s8, s11
	s_sub_i32 s11, s8, s11
	s_add_i32 s11, s11, 1
	s_lshl_b32 s8, s11, s5
	s_cmp_ge_i32 s6, s8
	s_cselect_b64 s[8:9], -1, 0
	s_cmp_ge_i32 s20, s5
	s_cselect_b64 s[14:15], -1, 0
	s_or_b64 s[8:9], s[14:15], s[8:9]
	s_and_b64 vcc, exec, s[8:9]
	s_cbranch_vccnz .LBB9_6
; %bb.13:                               ;   in Loop: Header=BB9_7 Depth=1
	s_ashr_i32 s5, s4, 31
	s_lshl_b64 s[8:9], s[4:5], 2
	s_add_u32 s43, s22, s8
	s_addc_u32 s45, s23, s9
	s_add_u32 s44, s31, s8
	s_addc_u32 s46, s33, s9
	s_abs_i32 s4, s11
	v_cvt_f32_u32_e32 v3, s4
	s_sub_i32 s14, 0, s4
	s_ashr_i32 s5, s11, 31
	s_xor_b32 s5, s40, s5
	v_rcp_iflag_f32_e32 v3, v3
	v_mul_f32_e32 v3, 0x4f7ffffe, v3
	v_cvt_u32_f32_e32 v3, v3
	v_readfirstlane_b32 s15, v3
	s_mul_i32 s14, s14, s15
	s_mul_hi_u32 s14, s15, s14
	s_add_i32 s15, s15, s14
	s_mul_hi_u32 s14, s41, s15
	s_mul_i32 s15, s14, s4
	s_sub_i32 s15, s41, s15
	s_add_i32 s16, s14, 1
	s_sub_i32 s17, s15, s4
	s_cmp_ge_u32 s15, s4
	s_cselect_b32 s14, s16, s14
	s_cselect_b32 s15, s17, s15
	s_add_i32 s16, s14, 1
	s_cmp_ge_u32 s15, s4
	s_cselect_b32 s4, s16, s14
	s_xor_b32 s4, s4, s5
	s_sub_i32 s4, s4, s5
	s_ashr_i32 s5, s4, 31
	s_lshl_b64 s[14:15], s[4:5], 2
	s_add_u32 s16, s44, s14
	s_addc_u32 s17, s46, s15
	s_sub_i32 s19, 0, s39
	global_load_dword v4, v2, s[16:17] offset:8
	v_readfirstlane_b32 s17, v1
	s_add_i32 s18, s4, s5
	s_mul_i32 s19, s19, s17
	s_xor_b32 s16, s18, s5
	s_mul_hi_u32 s18, s17, s19
	s_add_i32 s17, s17, s18
	s_mul_hi_u32 s17, s16, s17
	s_mul_i32 s17, s17, s39
	s_sub_i32 s16, s16, s17
	s_sub_i32 s17, s16, s39
	s_cmp_ge_u32 s16, s39
	s_cselect_b32 s16, s17, s16
	s_sub_i32 s17, s16, s39
	s_cmp_ge_u32 s16, s39
	s_cselect_b32 s16, s17, s16
	s_xor_b32 s16, s16, s5
	s_sub_i32 s16, s16, s5
	s_sub_i32 s18, s4, s16
	s_ashr_i32 s19, s18, 31
	s_lshl_b64 s[18:19], s[18:19], 2
	s_add_u32 s18, s44, s18
	s_addc_u32 s19, s46, s19
	s_add_u32 s44, s43, s14
	s_addc_u32 s45, s45, s15
	global_load_dword v5, v2, s[44:45] offset:8
	global_load_dword v3, v2, s[18:19] offset:8
	s_cmp_lt_i32 s16, 1
	s_waitcnt vmcnt(2)
	v_readfirstlane_b32 s5, v4
	s_waitcnt vmcnt(1)
	v_mov_b32_e32 v4, v5
	s_cbranch_scc1 .LBB9_16
; %bb.14:                               ;   in Loop: Header=BB9_7 Depth=1
	s_add_i32 s43, s16, 1
	s_add_u32 s44, s8, s14
	s_addc_u32 s45, s9, s15
	s_ashr_i32 s17, s16, 31
	s_lshl_b64 s[18:19], s[16:17], 2
	s_sub_u32 s17, s44, s18
	s_subb_u32 s19, s45, s19
	s_add_u32 s18, s24, s17
	s_addc_u32 s19, s25, s19
	v_mov_b32_e32 v4, v5
.LBB9_15:                               ;   Parent Loop BB9_7 Depth=1
                                        ; =>  This Inner Loop Header: Depth=2
	global_load_dword v6, v2, s[18:19]
	s_add_i32 s43, s43, -1
	s_add_u32 s18, s18, 4
	s_addc_u32 s19, s19, 0
	s_cmp_lt_u32 s43, 2
	s_waitcnt vmcnt(0)
	v_add_u32_e32 v4, v6, v4
	s_cbranch_scc0 .LBB9_15
.LBB9_16:                               ;   in Loop: Header=BB9_7 Depth=1
	s_not_b32 s17, s16
	s_add_i32 s18, s39, s17
	s_cmp_lt_i32 s18, 1
	s_cbranch_scc1 .LBB9_19
; %bb.17:                               ;   in Loop: Header=BB9_7 Depth=1
	s_ashr_i32 s19, s18, 31
	s_lshl_b64 s[18:19], s[18:19], 2
	s_add_u32 s8, s8, s18
	s_addc_u32 s9, s9, s19
	s_add_u32 s8, s8, s14
	s_addc_u32 s9, s9, s15
	;; [unrolled: 2-line block ×3, first 2 shown]
	s_sub_i32 s14, s39, s16
.LBB9_18:                               ;   Parent Loop BB9_7 Depth=1
                                        ; =>  This Inner Loop Header: Depth=2
	global_load_dword v6, v2, s[8:9]
	s_add_u32 s8, s8, -4
	s_addc_u32 s9, s9, -1
	s_add_i32 s14, s14, -1
	s_cmp_lt_u32 s14, 2
	s_waitcnt vmcnt(0)
	v_add_u32_e32 v4, v6, v4
	s_cbranch_scc0 .LBB9_18
.LBB9_19:                               ;   in Loop: Header=BB9_7 Depth=1
	s_mul_i32 s4, s4, s11
	s_sub_i32 s4, s6, s4
	v_cmp_lt_i32_e32 vcc, s4, v5
	s_cbranch_vccz .LBB9_6
; %bb.20:                               ;   in Loop: Header=BB9_7 Depth=1
	s_add_i32 s8, s4, s5
	s_ashr_i32 s9, s8, 31
	s_lshl_b64 s[4:5], s[8:9], 2
	s_add_u32 s14, s34, s4
	s_addc_u32 s15, s35, s5
	global_load_dword v5, v2, s[14:15] offset:8
	s_waitcnt vmcnt(0)
	v_cmp_ne_u32_e32 vcc, 1, v5
	s_cbranch_vccnz .LBB9_6
; %bb.21:                               ;   in Loop: Header=BB9_7 Depth=1
	s_and_saveexec_b64 s[14:15], s[0:1]
	s_cbranch_execz .LBB9_23
; %bb.22:                               ;   in Loop: Header=BB9_7 Depth=1
	s_add_u32 s16, s29, s4
	s_addc_u32 s17, s30, s5
	s_add_u32 s4, s36, s4
	s_addc_u32 s5, s37, s5
	global_load_dword v5, v2, s[4:5]
	s_waitcnt vmcnt(0)
	global_store_dword v2, v5, s[16:17]
.LBB9_23:                               ;   in Loop: Header=BB9_7 Depth=1
	s_or_b64 exec, exec, s[14:15]
	v_cmp_lt_i32_e32 vcc, v0, v4
	s_and_saveexec_b64 s[4:5], vcc
	s_cbranch_execz .LBB9_5
; %bb.24:                               ;   in Loop: Header=BB9_7 Depth=1
	v_add_u32_e32 v4, v4, v3
	v_add_u32_e32 v3, v3, v0
	s_mul_i32 s9, s8, s21
	s_mul_i32 s8, s8, s3
	v_add_u32_e32 v5, s8, v3
	v_ashrrev_i32_e32 v6, 31, v5
	v_lshlrev_b64 v[5:6], 2, v[5:6]
	v_mov_b32_e32 v7, s13
	v_add_co_u32_e32 v5, vcc, s12, v5
	v_addc_co_u32_e32 v6, vcc, v7, v6, vcc
	v_add_u32_e32 v7, s9, v3
	v_ashrrev_i32_e32 v8, 31, v7
	v_lshlrev_b64 v[7:8], 2, v[7:8]
	v_mov_b32_e32 v9, s42
	v_add_co_u32_e32 v7, vcc, s27, v7
	v_addc_co_u32_e32 v8, vcc, v9, v8, vcc
	s_mov_b64 s[8:9], 0
	s_mov_b64 s[14:15], 0
.LBB9_25:                               ;   Parent Loop BB9_7 Depth=1
                                        ; =>  This Inner Loop Header: Depth=2
	v_mov_b32_e32 v11, s15
	v_add_co_u32_e32 v9, vcc, s14, v7
	v_addc_co_u32_e32 v10, vcc, v8, v11, vcc
	global_load_dword v12, v[9:10], off
	v_add_co_u32_e32 v9, vcc, s14, v5
	v_add_u32_e32 v3, s38, v3
	s_add_u32 s14, s14, s26
	v_addc_co_u32_e32 v10, vcc, v6, v11, vcc
	s_addc_u32 s15, s15, 0
	v_cmp_ge_i32_e32 vcc, v3, v4
	s_or_b64 s[8:9], vcc, s[8:9]
	s_waitcnt vmcnt(0)
	global_store_dword v[9:10], v12, off
	s_andn2_b64 exec, exec, s[8:9]
	s_cbranch_execnz .LBB9_25
	s_branch .LBB9_5
.LBB9_26:
	s_endpgm
.LBB9_27:
                                        ; implicit-def: $sgpr12_sgpr13
                                        ; implicit-def: $sgpr9
	s_branch .LBB9_2
	.section	.rodata,"a",@progbits
	.p2align	6, 0x0
	.amdhsa_kernel _ZN9rocsolver6v33100L25stedcj_mergeUpdate_kernelIfEEviiPT_lS3_iilS3_S3_Pi
		.amdhsa_group_segment_fixed_size 0
		.amdhsa_private_segment_fixed_size 0
		.amdhsa_kernarg_size 328
		.amdhsa_user_sgpr_count 6
		.amdhsa_user_sgpr_private_segment_buffer 1
		.amdhsa_user_sgpr_dispatch_ptr 0
		.amdhsa_user_sgpr_queue_ptr 0
		.amdhsa_user_sgpr_kernarg_segment_ptr 1
		.amdhsa_user_sgpr_dispatch_id 0
		.amdhsa_user_sgpr_flat_scratch_init 0
		.amdhsa_user_sgpr_private_segment_size 0
		.amdhsa_uses_dynamic_stack 0
		.amdhsa_system_sgpr_private_segment_wavefront_offset 0
		.amdhsa_system_sgpr_workgroup_id_x 1
		.amdhsa_system_sgpr_workgroup_id_y 1
		.amdhsa_system_sgpr_workgroup_id_z 1
		.amdhsa_system_sgpr_workgroup_info 0
		.amdhsa_system_vgpr_workitem_id 0
		.amdhsa_next_free_vgpr 13
		.amdhsa_next_free_sgpr 47
		.amdhsa_reserve_vcc 1
		.amdhsa_reserve_flat_scratch 0
		.amdhsa_float_round_mode_32 0
		.amdhsa_float_round_mode_16_64 0
		.amdhsa_float_denorm_mode_32 3
		.amdhsa_float_denorm_mode_16_64 3
		.amdhsa_dx10_clamp 1
		.amdhsa_ieee_mode 1
		.amdhsa_fp16_overflow 0
		.amdhsa_exception_fp_ieee_invalid_op 0
		.amdhsa_exception_fp_denorm_src 0
		.amdhsa_exception_fp_ieee_div_zero 0
		.amdhsa_exception_fp_ieee_overflow 0
		.amdhsa_exception_fp_ieee_underflow 0
		.amdhsa_exception_fp_ieee_inexact 0
		.amdhsa_exception_int_div_zero 0
	.end_amdhsa_kernel
	.section	.text._ZN9rocsolver6v33100L25stedcj_mergeUpdate_kernelIfEEviiPT_lS3_iilS3_S3_Pi,"axG",@progbits,_ZN9rocsolver6v33100L25stedcj_mergeUpdate_kernelIfEEviiPT_lS3_iilS3_S3_Pi,comdat
.Lfunc_end9:
	.size	_ZN9rocsolver6v33100L25stedcj_mergeUpdate_kernelIfEEviiPT_lS3_iilS3_S3_Pi, .Lfunc_end9-_ZN9rocsolver6v33100L25stedcj_mergeUpdate_kernelIfEEviiPT_lS3_iilS3_S3_Pi
                                        ; -- End function
	.set _ZN9rocsolver6v33100L25stedcj_mergeUpdate_kernelIfEEviiPT_lS3_iilS3_S3_Pi.num_vgpr, 13
	.set _ZN9rocsolver6v33100L25stedcj_mergeUpdate_kernelIfEEviiPT_lS3_iilS3_S3_Pi.num_agpr, 0
	.set _ZN9rocsolver6v33100L25stedcj_mergeUpdate_kernelIfEEviiPT_lS3_iilS3_S3_Pi.numbered_sgpr, 47
	.set _ZN9rocsolver6v33100L25stedcj_mergeUpdate_kernelIfEEviiPT_lS3_iilS3_S3_Pi.num_named_barrier, 0
	.set _ZN9rocsolver6v33100L25stedcj_mergeUpdate_kernelIfEEviiPT_lS3_iilS3_S3_Pi.private_seg_size, 0
	.set _ZN9rocsolver6v33100L25stedcj_mergeUpdate_kernelIfEEviiPT_lS3_iilS3_S3_Pi.uses_vcc, 1
	.set _ZN9rocsolver6v33100L25stedcj_mergeUpdate_kernelIfEEviiPT_lS3_iilS3_S3_Pi.uses_flat_scratch, 0
	.set _ZN9rocsolver6v33100L25stedcj_mergeUpdate_kernelIfEEviiPT_lS3_iilS3_S3_Pi.has_dyn_sized_stack, 0
	.set _ZN9rocsolver6v33100L25stedcj_mergeUpdate_kernelIfEEviiPT_lS3_iilS3_S3_Pi.has_recursion, 0
	.set _ZN9rocsolver6v33100L25stedcj_mergeUpdate_kernelIfEEviiPT_lS3_iilS3_S3_Pi.has_indirect_call, 0
	.section	.AMDGPU.csdata,"",@progbits
; Kernel info:
; codeLenInByte = 1404
; TotalNumSgprs: 51
; NumVgprs: 13
; ScratchSize: 0
; MemoryBound: 0
; FloatMode: 240
; IeeeMode: 1
; LDSByteSize: 0 bytes/workgroup (compile time only)
; SGPRBlocks: 6
; VGPRBlocks: 3
; NumSGPRsForWavesPerEU: 51
; NumVGPRsForWavesPerEU: 13
; Occupancy: 10
; WaveLimiterHint : 1
; COMPUTE_PGM_RSRC2:SCRATCH_EN: 0
; COMPUTE_PGM_RSRC2:USER_SGPR: 6
; COMPUTE_PGM_RSRC2:TRAP_HANDLER: 0
; COMPUTE_PGM_RSRC2:TGID_X_EN: 1
; COMPUTE_PGM_RSRC2:TGID_Y_EN: 1
; COMPUTE_PGM_RSRC2:TGID_Z_EN: 1
; COMPUTE_PGM_RSRC2:TIDIG_COMP_CNT: 0
	.section	.text._ZN9rocsolver6v33100L8copy_matIfPfNS0_7no_maskEEEvNS0_17copymat_directionEiiT0_iilPT_T1_13rocblas_fill_17rocblas_diagonal_,"axG",@progbits,_ZN9rocsolver6v33100L8copy_matIfPfNS0_7no_maskEEEvNS0_17copymat_directionEiiT0_iilPT_T1_13rocblas_fill_17rocblas_diagonal_,comdat
	.globl	_ZN9rocsolver6v33100L8copy_matIfPfNS0_7no_maskEEEvNS0_17copymat_directionEiiT0_iilPT_T1_13rocblas_fill_17rocblas_diagonal_ ; -- Begin function _ZN9rocsolver6v33100L8copy_matIfPfNS0_7no_maskEEEvNS0_17copymat_directionEiiT0_iilPT_T1_13rocblas_fill_17rocblas_diagonal_
	.p2align	8
	.type	_ZN9rocsolver6v33100L8copy_matIfPfNS0_7no_maskEEEvNS0_17copymat_directionEiiT0_iilPT_T1_13rocblas_fill_17rocblas_diagonal_,@function
_ZN9rocsolver6v33100L8copy_matIfPfNS0_7no_maskEEEvNS0_17copymat_directionEiiT0_iilPT_T1_13rocblas_fill_17rocblas_diagonal_: ; @_ZN9rocsolver6v33100L8copy_matIfPfNS0_7no_maskEEEvNS0_17copymat_directionEiiT0_iilPT_T1_13rocblas_fill_17rocblas_diagonal_
; %bb.0:
	s_load_dword s0, s[4:5], 0x4c
	s_load_dwordx4 s[20:23], s[4:5], 0x0
	s_waitcnt lgkmcnt(0)
	s_lshr_b32 s1, s0, 16
	s_and_b32 s0, s0, 0xffff
	s_mul_i32 s7, s7, s1
	s_mul_i32 s6, s6, s0
	v_add_u32_e32 v1, s7, v1
	v_add_u32_e32 v0, s6, v0
	v_cmp_gt_u32_e32 vcc, s21, v0
	v_cmp_gt_u32_e64 s[0:1], s22, v1
	s_and_b64 s[0:1], s[0:1], vcc
	s_and_saveexec_b64 s[2:3], s[0:1]
	s_cbranch_execz .LBB10_14
; %bb.1:
	s_load_dwordx2 s[2:3], s[4:5], 0x34
	s_waitcnt lgkmcnt(0)
	s_cmpk_lt_i32 s2, 0x7a
	s_cbranch_scc1 .LBB10_4
; %bb.2:
	s_cmpk_gt_i32 s2, 0x7a
	s_cbranch_scc0 .LBB10_5
; %bb.3:
	s_cmpk_lg_i32 s2, 0x7b
	s_mov_b64 s[6:7], -1
	s_cselect_b64 s[10:11], -1, 0
	s_cbranch_execz .LBB10_6
	s_branch .LBB10_7
.LBB10_4:
	s_mov_b64 s[10:11], 0
	s_mov_b64 s[6:7], 0
	s_cbranch_execnz .LBB10_8
	s_branch .LBB10_10
.LBB10_5:
	s_mov_b64 s[6:7], 0
	s_mov_b64 s[10:11], 0
.LBB10_6:
	v_cmp_gt_u32_e32 vcc, v0, v1
	v_cmp_le_u32_e64 s[0:1], v0, v1
	s_andn2_b64 s[6:7], s[6:7], exec
	s_and_b64 s[12:13], vcc, exec
	s_andn2_b64 s[10:11], s[10:11], exec
	s_and_b64 s[0:1], s[0:1], exec
	s_or_b64 s[6:7], s[6:7], s[12:13]
	s_or_b64 s[10:11], s[10:11], s[0:1]
.LBB10_7:
	s_branch .LBB10_10
.LBB10_8:
	s_cmpk_eq_i32 s2, 0x79
	s_mov_b64 s[10:11], -1
	s_cbranch_scc0 .LBB10_10
; %bb.9:
	v_cmp_gt_u32_e32 vcc, v1, v0
	v_cmp_le_u32_e64 s[0:1], v1, v0
	s_andn2_b64 s[6:7], s[6:7], exec
	s_and_b64 s[10:11], vcc, exec
	s_or_b64 s[6:7], s[6:7], s[10:11]
	s_orn2_b64 s[10:11], s[0:1], exec
.LBB10_10:
	s_and_saveexec_b64 s[0:1], s[10:11]
; %bb.11:
	s_cmpk_eq_i32 s3, 0x83
	s_cselect_b64 s[2:3], -1, 0
	v_cmp_eq_u32_e32 vcc, v0, v1
	s_and_b64 s[2:3], s[2:3], vcc
	s_andn2_b64 s[6:7], s[6:7], exec
	s_and_b64 s[2:3], s[2:3], exec
	s_or_b64 s[6:7], s[6:7], s[2:3]
; %bb.12:
	s_or_b64 exec, exec, s[0:1]
	s_and_b64 exec, exec, s[6:7]
	s_cbranch_execz .LBB10_14
; %bb.13:
	s_load_dwordx8 s[12:19], s[4:5], 0x10
	s_ashr_i32 s4, s21, 31
	s_ashr_i32 s5, s22, 31
	s_mul_i32 s4, s4, s8
	s_waitcnt lgkmcnt(0)
	s_mul_i32 s2, s17, s8
	s_mul_hi_u32 s3, s16, s8
	s_add_i32 s3, s3, s2
	s_mul_i32 s2, s16, s8
	s_ashr_i32 s1, s14, 31
	s_lshl_b64 s[2:3], s[2:3], 2
	s_mov_b32 s0, s14
	s_add_u32 s2, s12, s2
	s_addc_u32 s3, s13, s3
	s_lshl_b64 s[0:1], s[0:1], 2
	s_add_u32 s2, s2, s0
	s_mul_hi_u32 s0, s21, s8
	s_addc_u32 s3, s3, s1
	s_add_i32 s0, s0, s4
	s_mul_i32 s4, s21, s8
	s_mul_i32 s1, s4, s5
	s_mul_hi_u32 s5, s4, s22
	s_add_i32 s1, s5, s1
	s_mul_i32 s0, s0, s22
	s_add_i32 s1, s1, s0
	s_mul_i32 s0, s4, s22
	s_lshl_b64 s[0:1], s[0:1], 2
	s_add_u32 s4, s18, s0
	s_addc_u32 s5, s19, s1
	s_cmp_eq_u32 s20, 0
	s_cselect_b32 s0, s15, s21
	v_mad_u64_u32 v[2:3], s[0:1], v1, s0, v[0:1]
	v_mov_b32_e32 v3, 0
	s_cselect_b32 s0, s3, s5
	v_lshlrev_b64 v[4:5], 2, v[2:3]
	s_cselect_b32 s1, s2, s4
	v_mov_b32_e32 v2, s0
	v_add_co_u32_e32 v4, vcc, s1, v4
	v_addc_co_u32_e32 v5, vcc, v2, v5, vcc
	global_load_dword v2, v[4:5], off
	s_cselect_b32 s0, s21, s15
	v_mad_u64_u32 v[0:1], s[0:1], v1, s0, v[0:1]
	v_mov_b32_e32 v1, v3
	s_cselect_b32 s0, s5, s3
	v_lshlrev_b64 v[0:1], 2, v[0:1]
	s_cselect_b32 s1, s4, s2
	v_mov_b32_e32 v3, s0
	v_add_co_u32_e32 v0, vcc, s1, v0
	v_addc_co_u32_e32 v1, vcc, v3, v1, vcc
	s_waitcnt vmcnt(0)
	global_store_dword v[0:1], v2, off
.LBB10_14:
	s_endpgm
	.section	.rodata,"a",@progbits
	.p2align	6, 0x0
	.amdhsa_kernel _ZN9rocsolver6v33100L8copy_matIfPfNS0_7no_maskEEEvNS0_17copymat_directionEiiT0_iilPT_T1_13rocblas_fill_17rocblas_diagonal_
		.amdhsa_group_segment_fixed_size 0
		.amdhsa_private_segment_fixed_size 0
		.amdhsa_kernarg_size 320
		.amdhsa_user_sgpr_count 6
		.amdhsa_user_sgpr_private_segment_buffer 1
		.amdhsa_user_sgpr_dispatch_ptr 0
		.amdhsa_user_sgpr_queue_ptr 0
		.amdhsa_user_sgpr_kernarg_segment_ptr 1
		.amdhsa_user_sgpr_dispatch_id 0
		.amdhsa_user_sgpr_flat_scratch_init 0
		.amdhsa_user_sgpr_private_segment_size 0
		.amdhsa_uses_dynamic_stack 0
		.amdhsa_system_sgpr_private_segment_wavefront_offset 0
		.amdhsa_system_sgpr_workgroup_id_x 1
		.amdhsa_system_sgpr_workgroup_id_y 1
		.amdhsa_system_sgpr_workgroup_id_z 1
		.amdhsa_system_sgpr_workgroup_info 0
		.amdhsa_system_vgpr_workitem_id 1
		.amdhsa_next_free_vgpr 6
		.amdhsa_next_free_sgpr 24
		.amdhsa_reserve_vcc 1
		.amdhsa_reserve_flat_scratch 0
		.amdhsa_float_round_mode_32 0
		.amdhsa_float_round_mode_16_64 0
		.amdhsa_float_denorm_mode_32 3
		.amdhsa_float_denorm_mode_16_64 3
		.amdhsa_dx10_clamp 1
		.amdhsa_ieee_mode 1
		.amdhsa_fp16_overflow 0
		.amdhsa_exception_fp_ieee_invalid_op 0
		.amdhsa_exception_fp_denorm_src 0
		.amdhsa_exception_fp_ieee_div_zero 0
		.amdhsa_exception_fp_ieee_overflow 0
		.amdhsa_exception_fp_ieee_underflow 0
		.amdhsa_exception_fp_ieee_inexact 0
		.amdhsa_exception_int_div_zero 0
	.end_amdhsa_kernel
	.section	.text._ZN9rocsolver6v33100L8copy_matIfPfNS0_7no_maskEEEvNS0_17copymat_directionEiiT0_iilPT_T1_13rocblas_fill_17rocblas_diagonal_,"axG",@progbits,_ZN9rocsolver6v33100L8copy_matIfPfNS0_7no_maskEEEvNS0_17copymat_directionEiiT0_iilPT_T1_13rocblas_fill_17rocblas_diagonal_,comdat
.Lfunc_end10:
	.size	_ZN9rocsolver6v33100L8copy_matIfPfNS0_7no_maskEEEvNS0_17copymat_directionEiiT0_iilPT_T1_13rocblas_fill_17rocblas_diagonal_, .Lfunc_end10-_ZN9rocsolver6v33100L8copy_matIfPfNS0_7no_maskEEEvNS0_17copymat_directionEiiT0_iilPT_T1_13rocblas_fill_17rocblas_diagonal_
                                        ; -- End function
	.set _ZN9rocsolver6v33100L8copy_matIfPfNS0_7no_maskEEEvNS0_17copymat_directionEiiT0_iilPT_T1_13rocblas_fill_17rocblas_diagonal_.num_vgpr, 6
	.set _ZN9rocsolver6v33100L8copy_matIfPfNS0_7no_maskEEEvNS0_17copymat_directionEiiT0_iilPT_T1_13rocblas_fill_17rocblas_diagonal_.num_agpr, 0
	.set _ZN9rocsolver6v33100L8copy_matIfPfNS0_7no_maskEEEvNS0_17copymat_directionEiiT0_iilPT_T1_13rocblas_fill_17rocblas_diagonal_.numbered_sgpr, 24
	.set _ZN9rocsolver6v33100L8copy_matIfPfNS0_7no_maskEEEvNS0_17copymat_directionEiiT0_iilPT_T1_13rocblas_fill_17rocblas_diagonal_.num_named_barrier, 0
	.set _ZN9rocsolver6v33100L8copy_matIfPfNS0_7no_maskEEEvNS0_17copymat_directionEiiT0_iilPT_T1_13rocblas_fill_17rocblas_diagonal_.private_seg_size, 0
	.set _ZN9rocsolver6v33100L8copy_matIfPfNS0_7no_maskEEEvNS0_17copymat_directionEiiT0_iilPT_T1_13rocblas_fill_17rocblas_diagonal_.uses_vcc, 1
	.set _ZN9rocsolver6v33100L8copy_matIfPfNS0_7no_maskEEEvNS0_17copymat_directionEiiT0_iilPT_T1_13rocblas_fill_17rocblas_diagonal_.uses_flat_scratch, 0
	.set _ZN9rocsolver6v33100L8copy_matIfPfNS0_7no_maskEEEvNS0_17copymat_directionEiiT0_iilPT_T1_13rocblas_fill_17rocblas_diagonal_.has_dyn_sized_stack, 0
	.set _ZN9rocsolver6v33100L8copy_matIfPfNS0_7no_maskEEEvNS0_17copymat_directionEiiT0_iilPT_T1_13rocblas_fill_17rocblas_diagonal_.has_recursion, 0
	.set _ZN9rocsolver6v33100L8copy_matIfPfNS0_7no_maskEEEvNS0_17copymat_directionEiiT0_iilPT_T1_13rocblas_fill_17rocblas_diagonal_.has_indirect_call, 0
	.section	.AMDGPU.csdata,"",@progbits
; Kernel info:
; codeLenInByte = 504
; TotalNumSgprs: 28
; NumVgprs: 6
; ScratchSize: 0
; MemoryBound: 0
; FloatMode: 240
; IeeeMode: 1
; LDSByteSize: 0 bytes/workgroup (compile time only)
; SGPRBlocks: 3
; VGPRBlocks: 1
; NumSGPRsForWavesPerEU: 28
; NumVGPRsForWavesPerEU: 6
; Occupancy: 10
; WaveLimiterHint : 0
; COMPUTE_PGM_RSRC2:SCRATCH_EN: 0
; COMPUTE_PGM_RSRC2:USER_SGPR: 6
; COMPUTE_PGM_RSRC2:TRAP_HANDLER: 0
; COMPUTE_PGM_RSRC2:TGID_X_EN: 1
; COMPUTE_PGM_RSRC2:TGID_Y_EN: 1
; COMPUTE_PGM_RSRC2:TGID_Z_EN: 1
; COMPUTE_PGM_RSRC2:TIDIG_COMP_CNT: 1
	.text
	.p2align	2                               ; -- Begin function __ockl_fprintf_append_string_n
	.type	__ockl_fprintf_append_string_n,@function
__ockl_fprintf_append_string_n:         ; @__ockl_fprintf_append_string_n
; %bb.0:
	s_waitcnt vmcnt(0) expcnt(0) lgkmcnt(0)
	v_mov_b32_e32 v8, v3
	v_mov_b32_e32 v7, v2
	v_or_b32_e32 v2, 2, v0
	v_cmp_eq_u32_e32 vcc, 0, v6
	v_cndmask_b32_e32 v0, v2, v0, vcc
	v_cmp_ne_u64_e32 vcc, 0, v[7:8]
	s_mov_b32 s22, 0
	s_mov_b64 s[6:7], 0
	v_mbcnt_lo_u32_b32 v2, -1, 0
	s_and_saveexec_b64 s[4:5], vcc
	s_xor_b64 s[10:11], exec, s[4:5]
	s_cbranch_execz .LBB11_86
; %bb.1:
	s_load_dwordx2 s[12:13], s[8:9], 0x50
	v_and_b32_e32 v6, 2, v0
	v_mov_b32_e32 v29, 0
	v_and_b32_e32 v0, -3, v0
	v_mbcnt_hi_u32_b32 v34, -1, v2
	s_movk_i32 s23, 0x1e0
	v_mov_b32_e32 v11, 2
	v_mov_b32_e32 v12, 1
	s_branch .LBB11_3
.LBB11_2:                               ;   in Loop: Header=BB11_3 Depth=1
	s_or_b64 exec, exec, s[16:17]
	v_sub_co_u32_e32 v4, vcc, v4, v30
	v_subb_co_u32_e32 v5, vcc, v5, v31, vcc
	v_cmp_eq_u64_e32 vcc, 0, v[4:5]
	s_or_b64 s[6:7], vcc, s[6:7]
	v_add_co_u32_e32 v7, vcc, v7, v30
	v_addc_co_u32_e32 v8, vcc, v8, v31, vcc
	s_andn2_b64 exec, exec, s[6:7]
	s_cbranch_execz .LBB11_85
.LBB11_3:                               ; =>This Loop Header: Depth=1
                                        ;     Child Loop BB11_6 Depth 2
                                        ;     Child Loop BB11_14 Depth 2
	;; [unrolled: 1-line block ×11, first 2 shown]
	v_cmp_gt_u64_e32 vcc, 56, v[4:5]
	v_add_co_u32_e64 v15, s[4:5], 8, v7
	v_cndmask_b32_e32 v31, 0, v5, vcc
	v_cndmask_b32_e32 v30, 56, v4, vcc
	v_cmp_gt_u64_e32 vcc, 8, v[4:5]
	v_addc_co_u32_e64 v16, s[4:5], 0, v8, s[4:5]
	s_and_saveexec_b64 s[4:5], vcc
	s_xor_b64 s[4:5], exec, s[4:5]
	s_cbranch_execz .LBB11_9
; %bb.4:                                ;   in Loop: Header=BB11_3 Depth=1
	s_waitcnt vmcnt(0)
	v_mov_b32_e32 v2, 0
	v_cmp_ne_u64_e32 vcc, 0, v[4:5]
	v_mov_b32_e32 v3, 0
	s_and_saveexec_b64 s[14:15], vcc
	s_cbranch_execz .LBB11_8
; %bb.5:                                ;   in Loop: Header=BB11_3 Depth=1
	v_lshlrev_b64 v[9:10], 3, v[30:31]
	v_mov_b32_e32 v2, 0
	v_mov_b32_e32 v14, v8
	s_mov_b64 s[16:17], 0
	v_mov_b32_e32 v3, 0
	v_mov_b32_e32 v13, v7
	s_mov_b64 s[18:19], 0
.LBB11_6:                               ;   Parent Loop BB11_3 Depth=1
                                        ; =>  This Inner Loop Header: Depth=2
	global_load_ubyte v10, v[13:14], off
	v_mov_b32_e32 v16, s22
	v_add_co_u32_e32 v13, vcc, 1, v13
	v_addc_co_u32_e32 v14, vcc, 0, v14, vcc
	s_waitcnt vmcnt(0)
	v_and_b32_e32 v15, 0xffff, v10
	v_lshlrev_b64 v[15:16], s18, v[15:16]
	s_add_u32 s18, s18, 8
	s_addc_u32 s19, s19, 0
	v_cmp_eq_u32_e32 vcc, s18, v9
	v_or_b32_e32 v3, v16, v3
	s_or_b64 s[16:17], vcc, s[16:17]
	v_or_b32_e32 v2, v15, v2
	s_andn2_b64 exec, exec, s[16:17]
	s_cbranch_execnz .LBB11_6
; %bb.7:                                ;   in Loop: Header=BB11_3 Depth=1
	s_or_b64 exec, exec, s[16:17]
.LBB11_8:                               ;   in Loop: Header=BB11_3 Depth=1
	s_or_b64 exec, exec, s[14:15]
	v_mov_b32_e32 v16, v8
	v_mov_b32_e32 v15, v7
.LBB11_9:                               ;   in Loop: Header=BB11_3 Depth=1
	s_or_saveexec_b64 s[4:5], s[4:5]
	v_mov_b32_e32 v17, 0
	s_xor_b64 exec, exec, s[4:5]
	s_cbranch_execz .LBB11_11
; %bb.10:                               ;   in Loop: Header=BB11_3 Depth=1
	global_load_dwordx2 v[2:3], v[7:8], off
	v_add_u32_e32 v17, -8, v30
.LBB11_11:                              ;   in Loop: Header=BB11_3 Depth=1
	s_or_b64 exec, exec, s[4:5]
	v_add_co_u32_e64 v9, s[4:5], 8, v15
	v_cmp_gt_u32_e32 vcc, 8, v17
	v_addc_co_u32_e64 v10, s[4:5], 0, v16, s[4:5]
                                        ; implicit-def: $vgpr13_vgpr14
	s_and_saveexec_b64 s[4:5], vcc
	s_xor_b64 s[4:5], exec, s[4:5]
	s_cbranch_execz .LBB11_17
; %bb.12:                               ;   in Loop: Header=BB11_3 Depth=1
	v_mov_b32_e32 v13, 0
	v_mov_b32_e32 v14, 0
	v_cmp_ne_u32_e32 vcc, 0, v17
	s_and_saveexec_b64 s[14:15], vcc
	s_cbranch_execz .LBB11_16
; %bb.13:                               ;   in Loop: Header=BB11_3 Depth=1
	v_mov_b32_e32 v13, 0
	s_mov_b64 s[16:17], 0
	v_mov_b32_e32 v14, 0
	s_mov_b64 s[18:19], 0
	s_mov_b64 s[20:21], 0
.LBB11_14:                              ;   Parent Loop BB11_3 Depth=1
                                        ; =>  This Inner Loop Header: Depth=2
	v_mov_b32_e32 v10, s21
	v_add_co_u32_e32 v9, vcc, s20, v15
	v_addc_co_u32_e32 v10, vcc, v16, v10, vcc
	global_load_ubyte v9, v[9:10], off
	s_add_u32 s20, s20, 1
	v_mov_b32_e32 v10, s22
	s_addc_u32 s21, s21, 0
	v_cmp_eq_u32_e32 vcc, s20, v17
	s_waitcnt vmcnt(0)
	v_and_b32_e32 v9, 0xffff, v9
	v_lshlrev_b64 v[9:10], s18, v[9:10]
	s_add_u32 s18, s18, 8
	s_addc_u32 s19, s19, 0
	v_or_b32_e32 v14, v10, v14
	s_or_b64 s[16:17], vcc, s[16:17]
	v_or_b32_e32 v13, v9, v13
	s_andn2_b64 exec, exec, s[16:17]
	s_cbranch_execnz .LBB11_14
; %bb.15:                               ;   in Loop: Header=BB11_3 Depth=1
	s_or_b64 exec, exec, s[16:17]
.LBB11_16:                              ;   in Loop: Header=BB11_3 Depth=1
	s_or_b64 exec, exec, s[14:15]
	v_mov_b32_e32 v9, v15
	v_mov_b32_e32 v10, v16
                                        ; implicit-def: $vgpr17
.LBB11_17:                              ;   in Loop: Header=BB11_3 Depth=1
	s_or_saveexec_b64 s[4:5], s[4:5]
	v_mov_b32_e32 v18, 0
	s_xor_b64 exec, exec, s[4:5]
	s_cbranch_execz .LBB11_19
; %bb.18:                               ;   in Loop: Header=BB11_3 Depth=1
	global_load_dwordx2 v[13:14], v[15:16], off
	v_add_u32_e32 v18, -8, v17
.LBB11_19:                              ;   in Loop: Header=BB11_3 Depth=1
	s_or_b64 exec, exec, s[4:5]
	v_add_co_u32_e64 v19, s[4:5], 8, v9
	v_cmp_gt_u32_e32 vcc, 8, v18
	v_addc_co_u32_e64 v20, s[4:5], 0, v10, s[4:5]
	s_and_saveexec_b64 s[4:5], vcc
	s_xor_b64 s[4:5], exec, s[4:5]
	s_cbranch_execz .LBB11_25
; %bb.20:                               ;   in Loop: Header=BB11_3 Depth=1
	v_mov_b32_e32 v15, 0
	v_mov_b32_e32 v16, 0
	v_cmp_ne_u32_e32 vcc, 0, v18
	s_and_saveexec_b64 s[14:15], vcc
	s_cbranch_execz .LBB11_24
; %bb.21:                               ;   in Loop: Header=BB11_3 Depth=1
	v_mov_b32_e32 v15, 0
	s_mov_b64 s[16:17], 0
	v_mov_b32_e32 v16, 0
	s_mov_b64 s[18:19], 0
	s_mov_b64 s[20:21], 0
.LBB11_22:                              ;   Parent Loop BB11_3 Depth=1
                                        ; =>  This Inner Loop Header: Depth=2
	v_mov_b32_e32 v17, s21
	v_add_co_u32_e32 v19, vcc, s20, v9
	v_addc_co_u32_e32 v20, vcc, v10, v17, vcc
	global_load_ubyte v17, v[19:20], off
	s_add_u32 s20, s20, 1
	v_mov_b32_e32 v20, s22
	s_addc_u32 s21, s21, 0
	v_cmp_eq_u32_e32 vcc, s20, v18
	s_waitcnt vmcnt(0)
	v_and_b32_e32 v19, 0xffff, v17
	v_lshlrev_b64 v[19:20], s18, v[19:20]
	s_add_u32 s18, s18, 8
	s_addc_u32 s19, s19, 0
	v_or_b32_e32 v16, v20, v16
	s_or_b64 s[16:17], vcc, s[16:17]
	v_or_b32_e32 v15, v19, v15
	s_andn2_b64 exec, exec, s[16:17]
	s_cbranch_execnz .LBB11_22
; %bb.23:                               ;   in Loop: Header=BB11_3 Depth=1
	s_or_b64 exec, exec, s[16:17]
.LBB11_24:                              ;   in Loop: Header=BB11_3 Depth=1
	s_or_b64 exec, exec, s[14:15]
	v_mov_b32_e32 v20, v10
	v_mov_b32_e32 v19, v9
                                        ; implicit-def: $vgpr18
.LBB11_25:                              ;   in Loop: Header=BB11_3 Depth=1
	s_or_saveexec_b64 s[4:5], s[4:5]
	v_mov_b32_e32 v21, 0
	s_xor_b64 exec, exec, s[4:5]
	s_cbranch_execz .LBB11_27
; %bb.26:                               ;   in Loop: Header=BB11_3 Depth=1
	global_load_dwordx2 v[15:16], v[9:10], off
	v_add_u32_e32 v21, -8, v18
.LBB11_27:                              ;   in Loop: Header=BB11_3 Depth=1
	s_or_b64 exec, exec, s[4:5]
	v_add_co_u32_e64 v9, s[4:5], 8, v19
	v_cmp_gt_u32_e32 vcc, 8, v21
	v_addc_co_u32_e64 v10, s[4:5], 0, v20, s[4:5]
                                        ; implicit-def: $vgpr17_vgpr18
	s_and_saveexec_b64 s[4:5], vcc
	s_xor_b64 s[4:5], exec, s[4:5]
	s_cbranch_execz .LBB11_33
; %bb.28:                               ;   in Loop: Header=BB11_3 Depth=1
	v_mov_b32_e32 v17, 0
	v_mov_b32_e32 v18, 0
	v_cmp_ne_u32_e32 vcc, 0, v21
	s_and_saveexec_b64 s[14:15], vcc
	s_cbranch_execz .LBB11_32
; %bb.29:                               ;   in Loop: Header=BB11_3 Depth=1
	v_mov_b32_e32 v17, 0
	s_mov_b64 s[16:17], 0
	v_mov_b32_e32 v18, 0
	s_mov_b64 s[18:19], 0
	s_mov_b64 s[20:21], 0
.LBB11_30:                              ;   Parent Loop BB11_3 Depth=1
                                        ; =>  This Inner Loop Header: Depth=2
	v_mov_b32_e32 v10, s21
	v_add_co_u32_e32 v9, vcc, s20, v19
	v_addc_co_u32_e32 v10, vcc, v20, v10, vcc
	global_load_ubyte v9, v[9:10], off
	s_add_u32 s20, s20, 1
	v_mov_b32_e32 v10, s22
	s_addc_u32 s21, s21, 0
	v_cmp_eq_u32_e32 vcc, s20, v21
	s_waitcnt vmcnt(0)
	v_and_b32_e32 v9, 0xffff, v9
	v_lshlrev_b64 v[9:10], s18, v[9:10]
	s_add_u32 s18, s18, 8
	s_addc_u32 s19, s19, 0
	v_or_b32_e32 v18, v10, v18
	s_or_b64 s[16:17], vcc, s[16:17]
	v_or_b32_e32 v17, v9, v17
	s_andn2_b64 exec, exec, s[16:17]
	s_cbranch_execnz .LBB11_30
; %bb.31:                               ;   in Loop: Header=BB11_3 Depth=1
	s_or_b64 exec, exec, s[16:17]
.LBB11_32:                              ;   in Loop: Header=BB11_3 Depth=1
	s_or_b64 exec, exec, s[14:15]
	v_mov_b32_e32 v9, v19
	v_mov_b32_e32 v10, v20
                                        ; implicit-def: $vgpr21
.LBB11_33:                              ;   in Loop: Header=BB11_3 Depth=1
	s_or_saveexec_b64 s[4:5], s[4:5]
	v_mov_b32_e32 v22, 0
	s_xor_b64 exec, exec, s[4:5]
	s_cbranch_execz .LBB11_35
; %bb.34:                               ;   in Loop: Header=BB11_3 Depth=1
	global_load_dwordx2 v[17:18], v[19:20], off
	v_add_u32_e32 v22, -8, v21
.LBB11_35:                              ;   in Loop: Header=BB11_3 Depth=1
	s_or_b64 exec, exec, s[4:5]
	v_add_co_u32_e64 v23, s[4:5], 8, v9
	v_cmp_gt_u32_e32 vcc, 8, v22
	v_addc_co_u32_e64 v24, s[4:5], 0, v10, s[4:5]
	s_and_saveexec_b64 s[4:5], vcc
	s_xor_b64 s[4:5], exec, s[4:5]
	s_cbranch_execz .LBB11_41
; %bb.36:                               ;   in Loop: Header=BB11_3 Depth=1
	v_mov_b32_e32 v19, 0
	v_mov_b32_e32 v20, 0
	v_cmp_ne_u32_e32 vcc, 0, v22
	s_and_saveexec_b64 s[14:15], vcc
	s_cbranch_execz .LBB11_40
; %bb.37:                               ;   in Loop: Header=BB11_3 Depth=1
	v_mov_b32_e32 v19, 0
	s_mov_b64 s[16:17], 0
	v_mov_b32_e32 v20, 0
	s_mov_b64 s[18:19], 0
	s_mov_b64 s[20:21], 0
.LBB11_38:                              ;   Parent Loop BB11_3 Depth=1
                                        ; =>  This Inner Loop Header: Depth=2
	v_mov_b32_e32 v21, s21
	v_add_co_u32_e32 v23, vcc, s20, v9
	v_addc_co_u32_e32 v24, vcc, v10, v21, vcc
	global_load_ubyte v21, v[23:24], off
	s_add_u32 s20, s20, 1
	v_mov_b32_e32 v24, s22
	s_addc_u32 s21, s21, 0
	v_cmp_eq_u32_e32 vcc, s20, v22
	s_waitcnt vmcnt(0)
	v_and_b32_e32 v23, 0xffff, v21
	v_lshlrev_b64 v[23:24], s18, v[23:24]
	s_add_u32 s18, s18, 8
	s_addc_u32 s19, s19, 0
	v_or_b32_e32 v20, v24, v20
	s_or_b64 s[16:17], vcc, s[16:17]
	v_or_b32_e32 v19, v23, v19
	s_andn2_b64 exec, exec, s[16:17]
	s_cbranch_execnz .LBB11_38
; %bb.39:                               ;   in Loop: Header=BB11_3 Depth=1
	s_or_b64 exec, exec, s[16:17]
.LBB11_40:                              ;   in Loop: Header=BB11_3 Depth=1
	s_or_b64 exec, exec, s[14:15]
	v_mov_b32_e32 v24, v10
	v_mov_b32_e32 v23, v9
                                        ; implicit-def: $vgpr22
.LBB11_41:                              ;   in Loop: Header=BB11_3 Depth=1
	s_or_saveexec_b64 s[4:5], s[4:5]
	v_mov_b32_e32 v25, 0
	s_xor_b64 exec, exec, s[4:5]
	s_cbranch_execz .LBB11_43
; %bb.42:                               ;   in Loop: Header=BB11_3 Depth=1
	global_load_dwordx2 v[19:20], v[9:10], off
	v_add_u32_e32 v25, -8, v22
.LBB11_43:                              ;   in Loop: Header=BB11_3 Depth=1
	s_or_b64 exec, exec, s[4:5]
	v_add_co_u32_e64 v9, s[4:5], 8, v23
	v_cmp_gt_u32_e32 vcc, 8, v25
	v_addc_co_u32_e64 v10, s[4:5], 0, v24, s[4:5]
                                        ; implicit-def: $vgpr21_vgpr22
	s_and_saveexec_b64 s[4:5], vcc
	s_xor_b64 s[4:5], exec, s[4:5]
	s_cbranch_execz .LBB11_49
; %bb.44:                               ;   in Loop: Header=BB11_3 Depth=1
	v_mov_b32_e32 v21, 0
	v_mov_b32_e32 v22, 0
	v_cmp_ne_u32_e32 vcc, 0, v25
	s_and_saveexec_b64 s[14:15], vcc
	s_cbranch_execz .LBB11_48
; %bb.45:                               ;   in Loop: Header=BB11_3 Depth=1
	v_mov_b32_e32 v21, 0
	s_mov_b64 s[16:17], 0
	v_mov_b32_e32 v22, 0
	s_mov_b64 s[18:19], 0
	s_mov_b64 s[20:21], 0
.LBB11_46:                              ;   Parent Loop BB11_3 Depth=1
                                        ; =>  This Inner Loop Header: Depth=2
	v_mov_b32_e32 v10, s21
	v_add_co_u32_e32 v9, vcc, s20, v23
	v_addc_co_u32_e32 v10, vcc, v24, v10, vcc
	global_load_ubyte v9, v[9:10], off
	s_add_u32 s20, s20, 1
	v_mov_b32_e32 v10, s22
	s_addc_u32 s21, s21, 0
	v_cmp_eq_u32_e32 vcc, s20, v25
	s_waitcnt vmcnt(0)
	v_and_b32_e32 v9, 0xffff, v9
	v_lshlrev_b64 v[9:10], s18, v[9:10]
	s_add_u32 s18, s18, 8
	s_addc_u32 s19, s19, 0
	v_or_b32_e32 v22, v10, v22
	s_or_b64 s[16:17], vcc, s[16:17]
	v_or_b32_e32 v21, v9, v21
	s_andn2_b64 exec, exec, s[16:17]
	s_cbranch_execnz .LBB11_46
; %bb.47:                               ;   in Loop: Header=BB11_3 Depth=1
	s_or_b64 exec, exec, s[16:17]
.LBB11_48:                              ;   in Loop: Header=BB11_3 Depth=1
	s_or_b64 exec, exec, s[14:15]
	v_mov_b32_e32 v9, v23
	v_mov_b32_e32 v10, v24
                                        ; implicit-def: $vgpr25
.LBB11_49:                              ;   in Loop: Header=BB11_3 Depth=1
	s_or_saveexec_b64 s[4:5], s[4:5]
	v_mov_b32_e32 v26, 0
	s_xor_b64 exec, exec, s[4:5]
	s_cbranch_execz .LBB11_51
; %bb.50:                               ;   in Loop: Header=BB11_3 Depth=1
	global_load_dwordx2 v[21:22], v[23:24], off
	v_add_u32_e32 v26, -8, v25
.LBB11_51:                              ;   in Loop: Header=BB11_3 Depth=1
	s_or_b64 exec, exec, s[4:5]
	v_cmp_gt_u32_e32 vcc, 8, v26
	s_and_saveexec_b64 s[4:5], vcc
	s_xor_b64 s[4:5], exec, s[4:5]
	s_cbranch_execz .LBB11_57
; %bb.52:                               ;   in Loop: Header=BB11_3 Depth=1
	v_mov_b32_e32 v23, 0
	v_mov_b32_e32 v24, 0
	v_cmp_ne_u32_e32 vcc, 0, v26
	s_and_saveexec_b64 s[14:15], vcc
	s_cbranch_execz .LBB11_56
; %bb.53:                               ;   in Loop: Header=BB11_3 Depth=1
	v_mov_b32_e32 v23, 0
	s_mov_b64 s[16:17], 0
	v_mov_b32_e32 v24, 0
	s_mov_b64 s[18:19], 0
.LBB11_54:                              ;   Parent Loop BB11_3 Depth=1
                                        ; =>  This Inner Loop Header: Depth=2
	global_load_ubyte v25, v[9:10], off
	v_mov_b32_e32 v28, s22
	v_add_co_u32_e32 v9, vcc, 1, v9
	v_add_u32_e32 v26, -1, v26
	v_addc_co_u32_e32 v10, vcc, 0, v10, vcc
	v_cmp_eq_u32_e32 vcc, 0, v26
	s_waitcnt vmcnt(0)
	v_and_b32_e32 v27, 0xffff, v25
	v_lshlrev_b64 v[27:28], s18, v[27:28]
	s_add_u32 s18, s18, 8
	s_addc_u32 s19, s19, 0
	v_or_b32_e32 v24, v28, v24
	s_or_b64 s[16:17], vcc, s[16:17]
	v_or_b32_e32 v23, v27, v23
	s_andn2_b64 exec, exec, s[16:17]
	s_cbranch_execnz .LBB11_54
; %bb.55:                               ;   in Loop: Header=BB11_3 Depth=1
	s_or_b64 exec, exec, s[16:17]
.LBB11_56:                              ;   in Loop: Header=BB11_3 Depth=1
	s_or_b64 exec, exec, s[14:15]
                                        ; implicit-def: $vgpr9_vgpr10
.LBB11_57:                              ;   in Loop: Header=BB11_3 Depth=1
	s_andn2_saveexec_b64 s[4:5], s[4:5]
	s_cbranch_execz .LBB11_59
; %bb.58:                               ;   in Loop: Header=BB11_3 Depth=1
	global_load_dwordx2 v[23:24], v[9:10], off
.LBB11_59:                              ;   in Loop: Header=BB11_3 Depth=1
	s_or_b64 exec, exec, s[4:5]
	v_readfirstlane_b32 s4, v34
	v_mov_b32_e32 v9, 0
	v_mov_b32_e32 v10, 0
	v_cmp_eq_u32_e64 s[4:5], s4, v34
	s_and_saveexec_b64 s[14:15], s[4:5]
	s_cbranch_execz .LBB11_65
; %bb.60:                               ;   in Loop: Header=BB11_3 Depth=1
	s_waitcnt lgkmcnt(0)
	global_load_dwordx2 v[27:28], v29, s[12:13] offset:24 glc
	s_waitcnt vmcnt(0)
	buffer_wbinvl1_vol
	global_load_dwordx2 v[9:10], v29, s[12:13] offset:40
	global_load_dwordx2 v[25:26], v29, s[12:13]
	s_waitcnt vmcnt(1)
	v_and_b32_e32 v9, v9, v27
	v_and_b32_e32 v10, v10, v28
	v_mul_lo_u32 v10, v10, 24
	v_mul_hi_u32 v32, v9, 24
	v_mul_lo_u32 v9, v9, 24
	v_add_u32_e32 v10, v32, v10
	s_waitcnt vmcnt(0)
	v_add_co_u32_e32 v9, vcc, v25, v9
	v_addc_co_u32_e32 v10, vcc, v26, v10, vcc
	global_load_dwordx2 v[25:26], v[9:10], off glc
	s_waitcnt vmcnt(0)
	global_atomic_cmpswap_x2 v[9:10], v29, v[25:28], s[12:13] offset:24 glc
	s_waitcnt vmcnt(0)
	buffer_wbinvl1_vol
	v_cmp_ne_u64_e32 vcc, v[9:10], v[27:28]
	s_and_saveexec_b64 s[16:17], vcc
	s_cbranch_execz .LBB11_64
; %bb.61:                               ;   in Loop: Header=BB11_3 Depth=1
	s_mov_b64 s[18:19], 0
.LBB11_62:                              ;   Parent Loop BB11_3 Depth=1
                                        ; =>  This Inner Loop Header: Depth=2
	s_sleep 1
	global_load_dwordx2 v[25:26], v29, s[12:13] offset:40
	global_load_dwordx2 v[32:33], v29, s[12:13]
	v_mov_b32_e32 v28, v10
	v_mov_b32_e32 v27, v9
	s_waitcnt vmcnt(1)
	v_and_b32_e32 v9, v25, v27
	s_waitcnt vmcnt(0)
	v_mad_u64_u32 v[9:10], s[20:21], v9, 24, v[32:33]
	v_and_b32_e32 v25, v26, v28
	v_mad_u64_u32 v[25:26], s[20:21], v25, 24, v[10:11]
	v_mov_b32_e32 v10, v25
	global_load_dwordx2 v[25:26], v[9:10], off glc
	s_waitcnt vmcnt(0)
	global_atomic_cmpswap_x2 v[9:10], v29, v[25:28], s[12:13] offset:24 glc
	s_waitcnt vmcnt(0)
	buffer_wbinvl1_vol
	v_cmp_eq_u64_e32 vcc, v[9:10], v[27:28]
	s_or_b64 s[18:19], vcc, s[18:19]
	s_andn2_b64 exec, exec, s[18:19]
	s_cbranch_execnz .LBB11_62
; %bb.63:                               ;   in Loop: Header=BB11_3 Depth=1
	s_or_b64 exec, exec, s[18:19]
.LBB11_64:                              ;   in Loop: Header=BB11_3 Depth=1
	s_or_b64 exec, exec, s[16:17]
.LBB11_65:                              ;   in Loop: Header=BB11_3 Depth=1
	s_or_b64 exec, exec, s[14:15]
	s_waitcnt lgkmcnt(0)
	global_load_dwordx2 v[32:33], v29, s[12:13] offset:40
	global_load_dwordx4 v[25:28], v29, s[12:13]
	v_readfirstlane_b32 s15, v10
	v_readfirstlane_b32 s14, v9
	s_mov_b64 s[16:17], exec
	s_waitcnt vmcnt(1)
	v_readfirstlane_b32 s18, v32
	v_readfirstlane_b32 s19, v33
	s_and_b64 s[18:19], s[18:19], s[14:15]
	s_mul_i32 s20, s19, 24
	s_mul_hi_u32 s21, s18, 24
	s_mul_i32 s24, s18, 24
	s_add_i32 s20, s21, s20
	v_mov_b32_e32 v9, s20
	s_waitcnt vmcnt(0)
	v_add_co_u32_e32 v32, vcc, s24, v25
	v_addc_co_u32_e32 v33, vcc, v26, v9, vcc
	s_and_saveexec_b64 s[20:21], s[4:5]
	s_cbranch_execz .LBB11_67
; %bb.66:                               ;   in Loop: Header=BB11_3 Depth=1
	v_mov_b32_e32 v9, s16
	v_mov_b32_e32 v10, s17
	global_store_dwordx4 v[32:33], v[9:12], off offset:8
.LBB11_67:                              ;   in Loop: Header=BB11_3 Depth=1
	s_or_b64 exec, exec, s[20:21]
	s_lshl_b64 s[16:17], s[18:19], 12
	v_mov_b32_e32 v9, s17
	v_add_co_u32_e32 v27, vcc, s16, v27
	v_addc_co_u32_e32 v35, vcc, v28, v9, vcc
	v_cmp_gt_u64_e32 vcc, 57, v[4:5]
	v_and_b32_e32 v0, 0xffffff1f, v0
	v_cndmask_b32_e32 v9, 0, v6, vcc
	v_lshl_add_u32 v10, v30, 2, 28
	v_or_b32_e32 v0, v0, v9
	v_and_or_b32 v0, v10, s23, v0
	v_lshlrev_b32_e32 v36, 6, v34
	v_readfirstlane_b32 s16, v27
	v_readfirstlane_b32 s17, v35
	s_nop 4
	global_store_dwordx4 v36, v[0:3], s[16:17]
	global_store_dwordx4 v36, v[13:16], s[16:17] offset:16
	global_store_dwordx4 v36, v[17:20], s[16:17] offset:32
	;; [unrolled: 1-line block ×3, first 2 shown]
	s_and_saveexec_b64 s[16:17], s[4:5]
	s_cbranch_execz .LBB11_75
; %bb.68:                               ;   in Loop: Header=BB11_3 Depth=1
	global_load_dwordx2 v[15:16], v29, s[12:13] offset:32 glc
	global_load_dwordx2 v[0:1], v29, s[12:13] offset:40
	v_mov_b32_e32 v13, s14
	v_mov_b32_e32 v14, s15
	s_waitcnt vmcnt(0)
	v_readfirstlane_b32 s18, v0
	v_readfirstlane_b32 s19, v1
	s_and_b64 s[18:19], s[18:19], s[14:15]
	s_mul_i32 s19, s19, 24
	s_mul_hi_u32 s20, s18, 24
	s_mul_i32 s18, s18, 24
	s_add_i32 s19, s20, s19
	v_mov_b32_e32 v0, s19
	v_add_co_u32_e32 v9, vcc, s18, v25
	v_addc_co_u32_e32 v10, vcc, v26, v0, vcc
	global_store_dwordx2 v[9:10], v[15:16], off
	s_waitcnt vmcnt(0)
	global_atomic_cmpswap_x2 v[2:3], v29, v[13:16], s[12:13] offset:32 glc
	s_waitcnt vmcnt(0)
	v_cmp_ne_u64_e32 vcc, v[2:3], v[15:16]
	s_and_saveexec_b64 s[18:19], vcc
	s_cbranch_execz .LBB11_71
; %bb.69:                               ;   in Loop: Header=BB11_3 Depth=1
	s_mov_b64 s[20:21], 0
.LBB11_70:                              ;   Parent Loop BB11_3 Depth=1
                                        ; =>  This Inner Loop Header: Depth=2
	s_sleep 1
	global_store_dwordx2 v[9:10], v[2:3], off
	v_mov_b32_e32 v0, s14
	v_mov_b32_e32 v1, s15
	s_waitcnt vmcnt(0)
	global_atomic_cmpswap_x2 v[0:1], v29, v[0:3], s[12:13] offset:32 glc
	s_waitcnt vmcnt(0)
	v_cmp_eq_u64_e32 vcc, v[0:1], v[2:3]
	v_mov_b32_e32 v3, v1
	s_or_b64 s[20:21], vcc, s[20:21]
	v_mov_b32_e32 v2, v0
	s_andn2_b64 exec, exec, s[20:21]
	s_cbranch_execnz .LBB11_70
.LBB11_71:                              ;   in Loop: Header=BB11_3 Depth=1
	s_or_b64 exec, exec, s[18:19]
	global_load_dwordx2 v[0:1], v29, s[12:13] offset:16
	s_mov_b64 s[20:21], exec
	v_mbcnt_lo_u32_b32 v2, s20, 0
	v_mbcnt_hi_u32_b32 v2, s21, v2
	v_cmp_eq_u32_e32 vcc, 0, v2
	s_and_saveexec_b64 s[18:19], vcc
	s_cbranch_execz .LBB11_73
; %bb.72:                               ;   in Loop: Header=BB11_3 Depth=1
	s_bcnt1_i32_b64 s20, s[20:21]
	v_mov_b32_e32 v28, s20
	s_waitcnt vmcnt(0)
	global_atomic_add_x2 v[0:1], v[28:29], off offset:8
.LBB11_73:                              ;   in Loop: Header=BB11_3 Depth=1
	s_or_b64 exec, exec, s[18:19]
	s_waitcnt vmcnt(0)
	global_load_dwordx2 v[2:3], v[0:1], off offset:16
	s_waitcnt vmcnt(0)
	v_cmp_eq_u64_e32 vcc, 0, v[2:3]
	s_cbranch_vccnz .LBB11_75
; %bb.74:                               ;   in Loop: Header=BB11_3 Depth=1
	global_load_dword v28, v[0:1], off offset:24
	s_waitcnt vmcnt(0)
	v_readfirstlane_b32 s18, v28
	s_and_b32 m0, s18, 0xffffff
	global_store_dwordx2 v[2:3], v[28:29], off
	s_sendmsg sendmsg(MSG_INTERRUPT)
.LBB11_75:                              ;   in Loop: Header=BB11_3 Depth=1
	s_or_b64 exec, exec, s[16:17]
	v_add_co_u32_e32 v0, vcc, v27, v36
	v_addc_co_u32_e32 v1, vcc, 0, v35, vcc
	s_branch .LBB11_79
.LBB11_76:                              ;   in Loop: Header=BB11_79 Depth=2
	s_or_b64 exec, exec, s[16:17]
	v_readfirstlane_b32 s16, v2
	s_cmp_eq_u32 s16, 0
	s_cbranch_scc1 .LBB11_78
; %bb.77:                               ;   in Loop: Header=BB11_79 Depth=2
	s_sleep 1
	s_cbranch_execnz .LBB11_79
	s_branch .LBB11_81
.LBB11_78:                              ;   in Loop: Header=BB11_3 Depth=1
	s_branch .LBB11_81
.LBB11_79:                              ;   Parent Loop BB11_3 Depth=1
                                        ; =>  This Inner Loop Header: Depth=2
	v_mov_b32_e32 v2, 1
	s_and_saveexec_b64 s[16:17], s[4:5]
	s_cbranch_execz .LBB11_76
; %bb.80:                               ;   in Loop: Header=BB11_79 Depth=2
	global_load_dword v2, v[32:33], off offset:20 glc
	s_waitcnt vmcnt(0)
	buffer_wbinvl1_vol
	v_and_b32_e32 v2, 1, v2
	s_branch .LBB11_76
.LBB11_81:                              ;   in Loop: Header=BB11_3 Depth=1
	global_load_dwordx4 v[0:3], v[0:1], off
	s_and_saveexec_b64 s[16:17], s[4:5]
	s_cbranch_execz .LBB11_2
; %bb.82:                               ;   in Loop: Header=BB11_3 Depth=1
	global_load_dwordx2 v[2:3], v29, s[12:13] offset:40
	global_load_dwordx2 v[17:18], v29, s[12:13] offset:24 glc
	global_load_dwordx2 v[9:10], v29, s[12:13]
	s_waitcnt vmcnt(2)
	v_readfirstlane_b32 s18, v2
	v_readfirstlane_b32 s19, v3
	s_add_u32 s20, s18, 1
	s_addc_u32 s21, s19, 0
	s_add_u32 s4, s20, s14
	s_addc_u32 s5, s21, s15
	s_cmp_eq_u64 s[4:5], 0
	s_cselect_b32 s5, s21, s5
	s_cselect_b32 s4, s20, s4
	s_and_b64 s[14:15], s[4:5], s[18:19]
	s_mul_i32 s15, s15, 24
	s_mul_hi_u32 s18, s14, 24
	s_mul_i32 s14, s14, 24
	s_add_i32 s15, s18, s15
	v_mov_b32_e32 v3, s15
	s_waitcnt vmcnt(0)
	v_add_co_u32_e32 v2, vcc, s14, v9
	v_addc_co_u32_e32 v3, vcc, v10, v3, vcc
	v_mov_b32_e32 v15, s4
	global_store_dwordx2 v[2:3], v[17:18], off
	v_mov_b32_e32 v16, s5
	s_waitcnt vmcnt(0)
	global_atomic_cmpswap_x2 v[15:16], v29, v[15:18], s[12:13] offset:24 glc
	s_waitcnt vmcnt(0)
	v_cmp_ne_u64_e32 vcc, v[15:16], v[17:18]
	s_and_b64 exec, exec, vcc
	s_cbranch_execz .LBB11_2
; %bb.83:                               ;   in Loop: Header=BB11_3 Depth=1
	s_mov_b64 s[14:15], 0
.LBB11_84:                              ;   Parent Loop BB11_3 Depth=1
                                        ; =>  This Inner Loop Header: Depth=2
	s_sleep 1
	global_store_dwordx2 v[2:3], v[15:16], off
	v_mov_b32_e32 v13, s4
	v_mov_b32_e32 v14, s5
	s_waitcnt vmcnt(0)
	global_atomic_cmpswap_x2 v[9:10], v29, v[13:16], s[12:13] offset:24 glc
	s_waitcnt vmcnt(0)
	v_cmp_eq_u64_e32 vcc, v[9:10], v[15:16]
	v_mov_b32_e32 v16, v10
	s_or_b64 s[14:15], vcc, s[14:15]
	v_mov_b32_e32 v15, v9
	s_andn2_b64 exec, exec, s[14:15]
	s_cbranch_execnz .LBB11_84
	s_branch .LBB11_2
.LBB11_85:
	s_or_b64 exec, exec, s[6:7]
                                        ; implicit-def: $vgpr0
                                        ; implicit-def: $vgpr1
                                        ; implicit-def: $vgpr2
.LBB11_86:
	s_andn2_saveexec_b64 s[6:7], s[10:11]
	s_cbranch_execz .LBB11_109
; %bb.87:
	s_load_dwordx2 s[8:9], s[8:9], 0x50
	s_waitcnt vmcnt(0)
	v_mbcnt_hi_u32_b32 v3, -1, v2
	v_readfirstlane_b32 s4, v3
	v_mov_b32_e32 v8, 0
	v_mov_b32_e32 v9, 0
	v_cmp_eq_u32_e64 s[4:5], s4, v3
	s_and_saveexec_b64 s[10:11], s[4:5]
	s_cbranch_execz .LBB11_93
; %bb.88:
	v_mov_b32_e32 v2, 0
	s_waitcnt lgkmcnt(0)
	global_load_dwordx2 v[6:7], v2, s[8:9] offset:24 glc
	s_waitcnt vmcnt(0)
	buffer_wbinvl1_vol
	global_load_dwordx2 v[4:5], v2, s[8:9] offset:40
	global_load_dwordx2 v[8:9], v2, s[8:9]
	s_waitcnt vmcnt(1)
	v_and_b32_e32 v4, v4, v6
	v_and_b32_e32 v5, v5, v7
	v_mul_lo_u32 v5, v5, 24
	v_mul_hi_u32 v10, v4, 24
	v_mul_lo_u32 v4, v4, 24
	v_add_u32_e32 v5, v10, v5
	s_waitcnt vmcnt(0)
	v_add_co_u32_e32 v4, vcc, v8, v4
	v_addc_co_u32_e32 v5, vcc, v9, v5, vcc
	global_load_dwordx2 v[4:5], v[4:5], off glc
	s_waitcnt vmcnt(0)
	global_atomic_cmpswap_x2 v[8:9], v2, v[4:7], s[8:9] offset:24 glc
	s_waitcnt vmcnt(0)
	buffer_wbinvl1_vol
	v_cmp_ne_u64_e32 vcc, v[8:9], v[6:7]
	s_and_saveexec_b64 s[12:13], vcc
	s_cbranch_execz .LBB11_92
; %bb.89:
	s_mov_b64 s[14:15], 0
.LBB11_90:                              ; =>This Inner Loop Header: Depth=1
	s_sleep 1
	global_load_dwordx2 v[4:5], v2, s[8:9] offset:40
	global_load_dwordx2 v[10:11], v2, s[8:9]
	v_mov_b32_e32 v6, v8
	v_mov_b32_e32 v7, v9
	s_waitcnt vmcnt(1)
	v_and_b32_e32 v4, v4, v6
	s_waitcnt vmcnt(0)
	v_mad_u64_u32 v[8:9], s[16:17], v4, 24, v[10:11]
	v_and_b32_e32 v5, v5, v7
	v_mov_b32_e32 v4, v9
	v_mad_u64_u32 v[4:5], s[16:17], v5, 24, v[4:5]
	v_mov_b32_e32 v9, v4
	global_load_dwordx2 v[4:5], v[8:9], off glc
	s_waitcnt vmcnt(0)
	global_atomic_cmpswap_x2 v[8:9], v2, v[4:7], s[8:9] offset:24 glc
	s_waitcnt vmcnt(0)
	buffer_wbinvl1_vol
	v_cmp_eq_u64_e32 vcc, v[8:9], v[6:7]
	s_or_b64 s[14:15], vcc, s[14:15]
	s_andn2_b64 exec, exec, s[14:15]
	s_cbranch_execnz .LBB11_90
; %bb.91:
	s_or_b64 exec, exec, s[14:15]
.LBB11_92:
	s_or_b64 exec, exec, s[12:13]
.LBB11_93:
	s_or_b64 exec, exec, s[10:11]
	v_mov_b32_e32 v2, 0
	s_waitcnt lgkmcnt(0)
	global_load_dwordx2 v[10:11], v2, s[8:9] offset:40
	global_load_dwordx4 v[4:7], v2, s[8:9]
	v_readfirstlane_b32 s11, v9
	v_readfirstlane_b32 s10, v8
	s_mov_b64 s[12:13], exec
	s_waitcnt vmcnt(1)
	v_readfirstlane_b32 s14, v10
	v_readfirstlane_b32 s15, v11
	s_and_b64 s[14:15], s[14:15], s[10:11]
	s_mul_i32 s16, s15, 24
	s_mul_hi_u32 s17, s14, 24
	s_mul_i32 s18, s14, 24
	s_add_i32 s16, s17, s16
	v_mov_b32_e32 v9, s16
	s_waitcnt vmcnt(0)
	v_add_co_u32_e32 v8, vcc, s18, v4
	v_addc_co_u32_e32 v9, vcc, v5, v9, vcc
	s_and_saveexec_b64 s[16:17], s[4:5]
	s_cbranch_execz .LBB11_95
; %bb.94:
	v_mov_b32_e32 v10, s12
	v_mov_b32_e32 v11, s13
	;; [unrolled: 1-line block ×4, first 2 shown]
	global_store_dwordx4 v[8:9], v[10:13], off offset:8
.LBB11_95:
	s_or_b64 exec, exec, s[16:17]
	s_lshl_b64 s[12:13], s[14:15], 12
	v_mov_b32_e32 v10, s13
	v_add_co_u32_e32 v6, vcc, s12, v6
	v_addc_co_u32_e32 v7, vcc, v7, v10, vcc
	s_movk_i32 s12, 0xff1f
	v_and_or_b32 v0, v0, s12, 32
	v_lshlrev_b32_e32 v10, 6, v3
	s_mov_b32 s12, 0
	v_mov_b32_e32 v3, v2
	v_readfirstlane_b32 s16, v6
	v_readfirstlane_b32 s17, v7
	s_mov_b32 s13, s12
	s_mov_b32 s14, s12
	;; [unrolled: 1-line block ×3, first 2 shown]
	s_nop 1
	global_store_dwordx4 v10, v[0:3], s[16:17]
	s_nop 0
	v_mov_b32_e32 v0, s12
	v_mov_b32_e32 v1, s13
	;; [unrolled: 1-line block ×4, first 2 shown]
	global_store_dwordx4 v10, v[0:3], s[16:17] offset:16
	global_store_dwordx4 v10, v[0:3], s[16:17] offset:32
	;; [unrolled: 1-line block ×3, first 2 shown]
	s_and_saveexec_b64 s[12:13], s[4:5]
	s_cbranch_execz .LBB11_103
; %bb.96:
	v_mov_b32_e32 v6, 0
	global_load_dwordx2 v[12:13], v6, s[8:9] offset:32 glc
	global_load_dwordx2 v[0:1], v6, s[8:9] offset:40
	v_mov_b32_e32 v10, s10
	v_mov_b32_e32 v11, s11
	s_waitcnt vmcnt(0)
	v_and_b32_e32 v0, s10, v0
	v_and_b32_e32 v1, s11, v1
	v_mul_lo_u32 v1, v1, 24
	v_mul_hi_u32 v2, v0, 24
	v_mul_lo_u32 v0, v0, 24
	v_add_u32_e32 v1, v2, v1
	v_add_co_u32_e32 v4, vcc, v4, v0
	v_addc_co_u32_e32 v5, vcc, v5, v1, vcc
	global_store_dwordx2 v[4:5], v[12:13], off
	s_waitcnt vmcnt(0)
	global_atomic_cmpswap_x2 v[2:3], v6, v[10:13], s[8:9] offset:32 glc
	s_waitcnt vmcnt(0)
	v_cmp_ne_u64_e32 vcc, v[2:3], v[12:13]
	s_and_saveexec_b64 s[14:15], vcc
	s_cbranch_execz .LBB11_99
; %bb.97:
	s_mov_b64 s[16:17], 0
.LBB11_98:                              ; =>This Inner Loop Header: Depth=1
	s_sleep 1
	global_store_dwordx2 v[4:5], v[2:3], off
	v_mov_b32_e32 v0, s10
	v_mov_b32_e32 v1, s11
	s_waitcnt vmcnt(0)
	global_atomic_cmpswap_x2 v[0:1], v6, v[0:3], s[8:9] offset:32 glc
	s_waitcnt vmcnt(0)
	v_cmp_eq_u64_e32 vcc, v[0:1], v[2:3]
	v_mov_b32_e32 v3, v1
	s_or_b64 s[16:17], vcc, s[16:17]
	v_mov_b32_e32 v2, v0
	s_andn2_b64 exec, exec, s[16:17]
	s_cbranch_execnz .LBB11_98
.LBB11_99:
	s_or_b64 exec, exec, s[14:15]
	v_mov_b32_e32 v3, 0
	global_load_dwordx2 v[0:1], v3, s[8:9] offset:16
	s_mov_b64 s[14:15], exec
	v_mbcnt_lo_u32_b32 v2, s14, 0
	v_mbcnt_hi_u32_b32 v2, s15, v2
	v_cmp_eq_u32_e32 vcc, 0, v2
	s_and_saveexec_b64 s[16:17], vcc
	s_cbranch_execz .LBB11_101
; %bb.100:
	s_bcnt1_i32_b64 s14, s[14:15]
	v_mov_b32_e32 v2, s14
	s_waitcnt vmcnt(0)
	global_atomic_add_x2 v[0:1], v[2:3], off offset:8
.LBB11_101:
	s_or_b64 exec, exec, s[16:17]
	s_waitcnt vmcnt(0)
	global_load_dwordx2 v[2:3], v[0:1], off offset:16
	s_waitcnt vmcnt(0)
	v_cmp_eq_u64_e32 vcc, 0, v[2:3]
	s_cbranch_vccnz .LBB11_103
; %bb.102:
	global_load_dword v0, v[0:1], off offset:24
	v_mov_b32_e32 v1, 0
	s_waitcnt vmcnt(0)
	v_readfirstlane_b32 s14, v0
	s_and_b32 m0, s14, 0xffffff
	global_store_dwordx2 v[2:3], v[0:1], off
	s_sendmsg sendmsg(MSG_INTERRUPT)
.LBB11_103:
	s_or_b64 exec, exec, s[12:13]
	s_branch .LBB11_107
.LBB11_104:                             ;   in Loop: Header=BB11_107 Depth=1
	s_or_b64 exec, exec, s[12:13]
	v_readfirstlane_b32 s12, v0
	s_cmp_eq_u32 s12, 0
	s_cbranch_scc1 .LBB11_106
; %bb.105:                              ;   in Loop: Header=BB11_107 Depth=1
	s_sleep 1
	s_cbranch_execnz .LBB11_107
	s_branch .LBB11_110
.LBB11_106:
	s_branch .LBB11_110
.LBB11_107:                             ; =>This Inner Loop Header: Depth=1
	v_mov_b32_e32 v0, 1
	s_and_saveexec_b64 s[12:13], s[4:5]
	s_cbranch_execz .LBB11_104
; %bb.108:                              ;   in Loop: Header=BB11_107 Depth=1
	global_load_dword v0, v[8:9], off offset:20 glc
	s_waitcnt vmcnt(0)
	buffer_wbinvl1_vol
	v_and_b32_e32 v0, 1, v0
	s_branch .LBB11_104
.LBB11_109:
	s_or_b64 exec, exec, s[6:7]
	s_waitcnt vmcnt(0) lgkmcnt(0)
	s_setpc_b64 s[30:31]
.LBB11_110:
	s_and_saveexec_b64 s[12:13], s[4:5]
	s_cbranch_execz .LBB11_113
; %bb.111:
	v_mov_b32_e32 v6, 0
	global_load_dwordx2 v[0:1], v6, s[8:9] offset:40
	global_load_dwordx2 v[9:10], v6, s[8:9] offset:24 glc
	global_load_dwordx2 v[2:3], v6, s[8:9]
	s_waitcnt vmcnt(2)
	v_readfirstlane_b32 s14, v0
	v_readfirstlane_b32 s15, v1
	s_add_u32 s16, s14, 1
	s_addc_u32 s17, s15, 0
	s_add_u32 s4, s16, s10
	s_addc_u32 s5, s17, s11
	s_cmp_eq_u64 s[4:5], 0
	s_cselect_b32 s5, s17, s5
	s_cselect_b32 s4, s16, s4
	s_and_b64 s[10:11], s[4:5], s[14:15]
	s_mul_i32 s11, s11, 24
	s_mul_hi_u32 s14, s10, 24
	s_mul_i32 s10, s10, 24
	s_add_i32 s11, s14, s11
	v_mov_b32_e32 v0, s11
	s_waitcnt vmcnt(0)
	v_add_co_u32_e32 v4, vcc, s10, v2
	v_addc_co_u32_e32 v5, vcc, v3, v0, vcc
	v_mov_b32_e32 v7, s4
	global_store_dwordx2 v[4:5], v[9:10], off
	v_mov_b32_e32 v8, s5
	s_waitcnt vmcnt(0)
	global_atomic_cmpswap_x2 v[2:3], v6, v[7:10], s[8:9] offset:24 glc
	s_mov_b64 s[10:11], 0
	s_waitcnt vmcnt(0)
	v_cmp_ne_u64_e32 vcc, v[2:3], v[9:10]
	s_and_b64 exec, exec, vcc
	s_cbranch_execz .LBB11_113
.LBB11_112:                             ; =>This Inner Loop Header: Depth=1
	s_sleep 1
	global_store_dwordx2 v[4:5], v[2:3], off
	v_mov_b32_e32 v0, s4
	v_mov_b32_e32 v1, s5
	s_waitcnt vmcnt(0)
	global_atomic_cmpswap_x2 v[0:1], v6, v[0:3], s[8:9] offset:24 glc
	s_waitcnt vmcnt(0)
	v_cmp_eq_u64_e32 vcc, v[0:1], v[2:3]
	v_mov_b32_e32 v3, v1
	s_or_b64 s[10:11], vcc, s[10:11]
	v_mov_b32_e32 v2, v0
	s_andn2_b64 exec, exec, s[10:11]
	s_cbranch_execnz .LBB11_112
.LBB11_113:
	s_or_b64 exec, exec, s[12:13]
	s_or_b64 exec, exec, s[6:7]
	s_waitcnt vmcnt(0) lgkmcnt(0)
	s_setpc_b64 s[30:31]
.Lfunc_end11:
	.size	__ockl_fprintf_append_string_n, .Lfunc_end11-__ockl_fprintf_append_string_n
                                        ; -- End function
	.set .L__ockl_fprintf_append_string_n.num_vgpr, 37
	.set .L__ockl_fprintf_append_string_n.num_agpr, 0
	.set .L__ockl_fprintf_append_string_n.numbered_sgpr, 32
	.set .L__ockl_fprintf_append_string_n.num_named_barrier, 0
	.set .L__ockl_fprintf_append_string_n.private_seg_size, 0
	.set .L__ockl_fprintf_append_string_n.uses_vcc, 1
	.set .L__ockl_fprintf_append_string_n.uses_flat_scratch, 0
	.set .L__ockl_fprintf_append_string_n.has_dyn_sized_stack, 0
	.set .L__ockl_fprintf_append_string_n.has_recursion, 0
	.set .L__ockl_fprintf_append_string_n.has_indirect_call, 0
	.section	.AMDGPU.csdata,"",@progbits
; Function info:
; codeLenInByte = 3868
; TotalNumSgprs: 36
; NumVgprs: 37
; ScratchSize: 0
; MemoryBound: 0
	.text
	.p2align	2                               ; -- Begin function __assert_fail
	.type	__assert_fail,@function
__assert_fail:                          ; @__assert_fail
; %bb.0:
	s_waitcnt vmcnt(0) expcnt(0) lgkmcnt(0)
	s_mov_b32 s25, s33
	s_mov_b32 s33, s32
	s_or_saveexec_b64 s[4:5], -1
	buffer_store_dword v40, off, s[0:3], s33 offset:48 ; 4-byte Folded Spill
	s_mov_b64 exec, s[4:5]
	v_writelane_b32 v40, s30, 0
	s_addk_i32 s32, 0x1000
	v_writelane_b32 v40, s31, 1
	v_mov_b32_e32 v6, v3
	v_mov_b32_e32 v3, 0
	s_getpc_b64 s[4:5]
	s_add_u32 s4, s4, __const.__assert_fail.fmt@rel32@lo+35
	s_addc_u32 s5, s5, __const.__assert_fail.fmt@rel32@hi+43
	global_load_dwordx4 v[10:13], v3, s[4:5]
	s_getpc_b64 s[16:17]
	s_add_u32 s16, s16, __const.__assert_fail.fmt@rel32@lo+4
	s_addc_u32 s17, s17, __const.__assert_fail.fmt@rel32@hi+12
	s_getpc_b64 s[18:19]
	s_add_u32 s18, s18, __const.__assert_fail.fmt@rel32@lo+20
	s_addc_u32 s19, s19, __const.__assert_fail.fmt@rel32@hi+28
	v_mov_b32_e32 v7, v4
	v_mbcnt_lo_u32_b32 v4, -1, 0
	s_load_dwordx4 s[4:7], s[16:17], 0x0
	s_load_dwordx4 s[12:15], s[18:19], 0x0
	s_load_dwordx2 s[10:11], s[8:9], 0x50
	v_mbcnt_hi_u32_b32 v38, -1, v4
	v_mov_b32_e32 v9, v1
	v_mov_b32_e32 v8, v0
	;; [unrolled: 1-line block ×3, first 2 shown]
	v_readfirstlane_b32 s16, v38
	v_mov_b32_e32 v1, 0
	s_waitcnt lgkmcnt(0)
	v_mov_b32_e32 v4, s7
	v_mov_b32_e32 v14, s5
	;; [unrolled: 1-line block ×3, first 2 shown]
	v_cmp_eq_u32_e64 s[4:5], s16, v38
	v_mov_b32_e32 v5, s6
	v_mov_b32_e32 v16, s15
	;; [unrolled: 1-line block ×5, first 2 shown]
	buffer_store_dword v4, off, s[0:3], s33 offset:12
	buffer_store_dword v5, off, s[0:3], s33 offset:8
	;; [unrolled: 1-line block ×3, first 2 shown]
	buffer_store_dword v15, off, s[0:3], s33
	buffer_store_dword v16, off, s[0:3], s33 offset:28
	buffer_store_dword v17, off, s[0:3], s33 offset:24
	;; [unrolled: 1-line block ×4, first 2 shown]
	s_waitcnt vmcnt(8)
	buffer_store_dword v13, off, s[0:3], s33 offset:43
	buffer_store_dword v12, off, s[0:3], s33 offset:39
	;; [unrolled: 1-line block ×4, first 2 shown]
	s_and_saveexec_b64 s[6:7], s[4:5]
	s_cbranch_execz .LBB12_6
; %bb.1:
	global_load_dwordx2 v[12:13], v3, s[10:11] offset:24 glc
	s_waitcnt vmcnt(0)
	buffer_wbinvl1_vol
	global_load_dwordx2 v[0:1], v3, s[10:11] offset:40
	global_load_dwordx2 v[4:5], v3, s[10:11]
	s_waitcnt vmcnt(1)
	v_and_b32_e32 v0, v0, v12
	v_and_b32_e32 v1, v1, v13
	v_mul_lo_u32 v1, v1, 24
	v_mul_hi_u32 v10, v0, 24
	v_mul_lo_u32 v0, v0, 24
	v_add_u32_e32 v1, v10, v1
	s_waitcnt vmcnt(0)
	v_add_co_u32_e32 v0, vcc, v4, v0
	v_addc_co_u32_e32 v1, vcc, v5, v1, vcc
	global_load_dwordx2 v[10:11], v[0:1], off glc
	s_waitcnt vmcnt(0)
	global_atomic_cmpswap_x2 v[0:1], v3, v[10:13], s[10:11] offset:24 glc
	s_waitcnt vmcnt(0)
	buffer_wbinvl1_vol
	v_cmp_ne_u64_e32 vcc, v[0:1], v[12:13]
	s_and_saveexec_b64 s[12:13], vcc
	s_cbranch_execz .LBB12_5
; %bb.2:
	s_mov_b64 s[14:15], 0
	v_mov_b32_e32 v4, 0
.LBB12_3:                               ; =>This Inner Loop Header: Depth=1
	s_sleep 1
	global_load_dwordx2 v[10:11], v4, s[10:11] offset:40
	global_load_dwordx2 v[14:15], v4, s[10:11]
	v_mov_b32_e32 v13, v1
	v_mov_b32_e32 v12, v0
	s_waitcnt vmcnt(1)
	v_and_b32_e32 v0, v10, v12
	s_waitcnt vmcnt(0)
	v_mad_u64_u32 v[0:1], s[16:17], v0, 24, v[14:15]
	v_and_b32_e32 v5, v11, v13
	v_mad_u64_u32 v[10:11], s[16:17], v5, 24, v[1:2]
	v_mov_b32_e32 v1, v10
	global_load_dwordx2 v[10:11], v[0:1], off glc
	s_waitcnt vmcnt(0)
	global_atomic_cmpswap_x2 v[0:1], v4, v[10:13], s[10:11] offset:24 glc
	s_waitcnt vmcnt(0)
	buffer_wbinvl1_vol
	v_cmp_eq_u64_e32 vcc, v[0:1], v[12:13]
	s_or_b64 s[14:15], vcc, s[14:15]
	s_andn2_b64 exec, exec, s[14:15]
	s_cbranch_execnz .LBB12_3
; %bb.4:
	s_or_b64 exec, exec, s[14:15]
.LBB12_5:
	s_or_b64 exec, exec, s[12:13]
.LBB12_6:
	s_or_b64 exec, exec, s[6:7]
	global_load_dwordx2 v[4:5], v3, s[10:11] offset:40
	global_load_dwordx4 v[10:13], v3, s[10:11]
	v_readfirstlane_b32 s7, v1
	v_readfirstlane_b32 s6, v0
	s_mov_b64 s[12:13], exec
	s_waitcnt vmcnt(1)
	v_readfirstlane_b32 s14, v4
	v_readfirstlane_b32 s15, v5
	s_and_b64 s[14:15], s[14:15], s[6:7]
	s_mul_i32 s16, s15, 24
	s_mul_hi_u32 s17, s14, 24
	s_mul_i32 s18, s14, 24
	s_add_i32 s16, s17, s16
	v_mov_b32_e32 v1, s16
	s_waitcnt vmcnt(0)
	v_add_co_u32_e32 v0, vcc, s18, v10
	v_addc_co_u32_e32 v1, vcc, v11, v1, vcc
	s_and_saveexec_b64 s[16:17], s[4:5]
	s_cbranch_execz .LBB12_8
; %bb.7:
	v_mov_b32_e32 v15, s13
	v_mov_b32_e32 v14, s12
	;; [unrolled: 1-line block ×4, first 2 shown]
	global_store_dwordx4 v[0:1], v[14:17], off offset:8
.LBB12_8:
	s_or_b64 exec, exec, s[16:17]
	s_lshl_b64 s[12:13], s[14:15], 12
	v_mov_b32_e32 v3, s13
	v_add_co_u32_e32 v5, vcc, s12, v12
	v_addc_co_u32_e32 v16, vcc, v13, v3, vcc
	v_mov_b32_e32 v13, 0
	v_lshlrev_b32_e32 v39, 6, v38
	s_mov_b32 s12, 0
	v_add_co_u32_e32 v3, vcc, v5, v39
	v_mov_b32_e32 v12, 33
	v_mov_b32_e32 v14, 1
	;; [unrolled: 1-line block ×3, first 2 shown]
	v_readfirstlane_b32 s16, v5
	v_readfirstlane_b32 s17, v16
	s_mov_b32 s15, s12
	v_addc_co_u32_e32 v4, vcc, 0, v16, vcc
	s_mov_b32 s13, s12
	s_mov_b32 s14, s12
	s_nop 0
	global_store_dwordx4 v39, v[12:15], s[16:17]
	v_mov_b32_e32 v17, s15
	v_mov_b32_e32 v16, s14
	;; [unrolled: 1-line block ×4, first 2 shown]
	global_store_dwordx4 v39, v[14:17], s[16:17] offset:16
	global_store_dwordx4 v39, v[14:17], s[16:17] offset:32
	;; [unrolled: 1-line block ×3, first 2 shown]
	s_and_saveexec_b64 s[12:13], s[4:5]
	s_cbranch_execz .LBB12_16
; %bb.9:
	global_load_dwordx2 v[18:19], v13, s[10:11] offset:32 glc
	global_load_dwordx2 v[14:15], v13, s[10:11] offset:40
	v_mov_b32_e32 v16, s6
	v_mov_b32_e32 v17, s7
	s_waitcnt vmcnt(0)
	v_and_b32_e32 v5, s6, v14
	v_and_b32_e32 v12, s7, v15
	v_mul_lo_u32 v12, v12, 24
	v_mul_hi_u32 v14, v5, 24
	v_mul_lo_u32 v5, v5, 24
	v_add_u32_e32 v12, v14, v12
	v_add_co_u32_e32 v14, vcc, v10, v5
	v_addc_co_u32_e32 v15, vcc, v11, v12, vcc
	global_store_dwordx2 v[14:15], v[18:19], off
	s_waitcnt vmcnt(0)
	global_atomic_cmpswap_x2 v[12:13], v13, v[16:19], s[10:11] offset:32 glc
	s_waitcnt vmcnt(0)
	v_cmp_ne_u64_e32 vcc, v[12:13], v[18:19]
	s_and_saveexec_b64 s[14:15], vcc
	s_cbranch_execz .LBB12_12
; %bb.10:
	s_mov_b64 s[16:17], 0
	v_mov_b32_e32 v5, 0
.LBB12_11:                              ; =>This Inner Loop Header: Depth=1
	s_sleep 1
	global_store_dwordx2 v[14:15], v[12:13], off
	v_mov_b32_e32 v10, s6
	v_mov_b32_e32 v11, s7
	s_waitcnt vmcnt(0)
	global_atomic_cmpswap_x2 v[10:11], v5, v[10:13], s[10:11] offset:32 glc
	s_waitcnt vmcnt(0)
	v_cmp_eq_u64_e32 vcc, v[10:11], v[12:13]
	v_mov_b32_e32 v13, v11
	s_or_b64 s[16:17], vcc, s[16:17]
	v_mov_b32_e32 v12, v10
	s_andn2_b64 exec, exec, s[16:17]
	s_cbranch_execnz .LBB12_11
.LBB12_12:
	s_or_b64 exec, exec, s[14:15]
	v_mov_b32_e32 v13, 0
	global_load_dwordx2 v[10:11], v13, s[10:11] offset:16
	s_mov_b64 s[14:15], exec
	v_mbcnt_lo_u32_b32 v5, s14, 0
	v_mbcnt_hi_u32_b32 v5, s15, v5
	v_cmp_eq_u32_e32 vcc, 0, v5
	s_and_saveexec_b64 s[16:17], vcc
	s_cbranch_execz .LBB12_14
; %bb.13:
	s_bcnt1_i32_b64 s14, s[14:15]
	v_mov_b32_e32 v12, s14
	s_waitcnt vmcnt(0)
	global_atomic_add_x2 v[10:11], v[12:13], off offset:8
.LBB12_14:
	s_or_b64 exec, exec, s[16:17]
	s_waitcnt vmcnt(0)
	global_load_dwordx2 v[12:13], v[10:11], off offset:16
	s_waitcnt vmcnt(0)
	v_cmp_eq_u64_e32 vcc, 0, v[12:13]
	s_cbranch_vccnz .LBB12_16
; %bb.15:
	global_load_dword v10, v[10:11], off offset:24
	v_mov_b32_e32 v11, 0
	s_waitcnt vmcnt(0)
	v_readfirstlane_b32 s14, v10
	s_and_b32 m0, s14, 0xffffff
	global_store_dwordx2 v[12:13], v[10:11], off
	s_sendmsg sendmsg(MSG_INTERRUPT)
.LBB12_16:
	s_or_b64 exec, exec, s[12:13]
	s_branch .LBB12_20
.LBB12_17:                              ;   in Loop: Header=BB12_20 Depth=1
	s_or_b64 exec, exec, s[12:13]
	v_readfirstlane_b32 s12, v5
	s_cmp_eq_u32 s12, 0
	s_cbranch_scc1 .LBB12_19
; %bb.18:                               ;   in Loop: Header=BB12_20 Depth=1
	s_sleep 1
	s_cbranch_execnz .LBB12_20
	s_branch .LBB12_22
.LBB12_19:
	s_branch .LBB12_22
.LBB12_20:                              ; =>This Inner Loop Header: Depth=1
	v_mov_b32_e32 v5, 1
	s_and_saveexec_b64 s[12:13], s[4:5]
	s_cbranch_execz .LBB12_17
; %bb.21:                               ;   in Loop: Header=BB12_20 Depth=1
	global_load_dword v5, v[0:1], off offset:20 glc
	s_waitcnt vmcnt(0)
	buffer_wbinvl1_vol
	v_and_b32_e32 v5, 1, v5
	s_branch .LBB12_17
.LBB12_22:
	global_load_dwordx2 v[14:15], v[3:4], off
	s_and_saveexec_b64 s[12:13], s[4:5]
	s_cbranch_execz .LBB12_25
; %bb.23:
	v_mov_b32_e32 v3, 0
	global_load_dwordx2 v[0:1], v3, s[10:11] offset:40
	global_load_dwordx2 v[18:19], v3, s[10:11] offset:24 glc
	global_load_dwordx2 v[4:5], v3, s[10:11]
	s_waitcnt vmcnt(2)
	v_readfirstlane_b32 s14, v0
	v_readfirstlane_b32 s15, v1
	s_add_u32 s16, s14, 1
	s_addc_u32 s17, s15, 0
	s_add_u32 s4, s16, s6
	s_addc_u32 s5, s17, s7
	s_cmp_eq_u64 s[4:5], 0
	s_cselect_b32 s5, s17, s5
	s_cselect_b32 s4, s16, s4
	s_and_b64 s[6:7], s[4:5], s[14:15]
	s_mul_i32 s7, s7, 24
	s_mul_hi_u32 s14, s6, 24
	s_mul_i32 s6, s6, 24
	s_add_i32 s7, s14, s7
	v_mov_b32_e32 v1, s7
	s_waitcnt vmcnt(0)
	v_add_co_u32_e32 v0, vcc, s6, v4
	v_addc_co_u32_e32 v1, vcc, v5, v1, vcc
	v_mov_b32_e32 v16, s4
	global_store_dwordx2 v[0:1], v[18:19], off
	v_mov_b32_e32 v17, s5
	s_waitcnt vmcnt(0)
	global_atomic_cmpswap_x2 v[12:13], v3, v[16:19], s[10:11] offset:24 glc
	s_mov_b64 s[6:7], 0
	s_waitcnt vmcnt(0)
	v_cmp_ne_u64_e32 vcc, v[12:13], v[18:19]
	s_and_b64 exec, exec, vcc
	s_cbranch_execz .LBB12_25
.LBB12_24:                              ; =>This Inner Loop Header: Depth=1
	s_sleep 1
	global_store_dwordx2 v[0:1], v[12:13], off
	v_mov_b32_e32 v10, s4
	v_mov_b32_e32 v11, s5
	s_waitcnt vmcnt(0)
	global_atomic_cmpswap_x2 v[4:5], v3, v[10:13], s[10:11] offset:24 glc
	s_waitcnt vmcnt(0)
	v_cmp_eq_u64_e32 vcc, v[4:5], v[12:13]
	v_mov_b32_e32 v13, v5
	s_or_b64 s[6:7], vcc, s[6:7]
	v_mov_b32_e32 v12, v4
	s_andn2_b64 exec, exec, s[6:7]
	s_cbranch_execnz .LBB12_24
.LBB12_25:
	s_or_b64 exec, exec, s[12:13]
	s_lshr_b32 s6, s33, 6
	s_mov_b64 s[4:5], 0
.LBB12_26:                              ; =>This Inner Loop Header: Depth=1
	v_mov_b32_e32 v0, s6
	buffer_load_ubyte v1, v0, s[0:3], 0 offen
	s_add_i32 s6, s6, 1
	v_mov_b32_e32 v0, s6
	s_waitcnt vmcnt(0)
	v_cmp_eq_u16_e32 vcc, 0, v1
	s_or_b64 s[4:5], vcc, s[4:5]
	s_andn2_b64 exec, exec, s[4:5]
	s_cbranch_execnz .LBB12_26
; %bb.27:
	s_or_b64 exec, exec, s[4:5]
	s_lshr_b32 s4, s33, 6
	s_cmp_lg_u32 s4, -1
	s_cbranch_scc0 .LBB12_112
; %bb.28:
	v_lshrrev_b32_e64 v1, 6, s33
	v_subrev_u32_e32 v0, v1, v0
	v_ashrrev_i32_e32 v1, 31, v0
	v_and_b32_e32 v5, 2, v14
	v_mov_b32_e32 v4, 0
	v_and_b32_e32 v10, -3, v14
	v_mov_b32_e32 v11, v15
	s_mov_b64 s[12:13], 0
	v_lshrrev_b32_e64 v48, 6, s33
	s_mov_b32 s20, 0
	s_movk_i32 s21, 0x1e0
	v_mov_b32_e32 v18, 2
	v_mov_b32_e32 v19, 1
	s_branch .LBB12_30
.LBB12_29:                              ;   in Loop: Header=BB12_30 Depth=1
	s_or_b64 exec, exec, s[14:15]
	v_sub_co_u32_e32 v0, vcc, v0, v49
	v_subb_co_u32_e32 v1, vcc, v1, v50, vcc
	v_cmp_eq_u64_e32 vcc, 0, v[0:1]
	v_add_u32_e32 v48, v48, v49
	s_or_b64 s[12:13], vcc, s[12:13]
	s_andn2_b64 exec, exec, s[12:13]
	s_cbranch_execz .LBB12_113
.LBB12_30:                              ; =>This Loop Header: Depth=1
                                        ;     Child Loop BB12_33 Depth 2
                                        ;     Child Loop BB12_41 Depth 2
	;; [unrolled: 1-line block ×11, first 2 shown]
	v_cmp_gt_u64_e32 vcc, 56, v[0:1]
	v_cmp_gt_u64_e64 s[4:5], 8, v[0:1]
	v_cndmask_b32_e32 v49, 56, v0, vcc
	v_add_u32_e32 v16, 8, v48
	s_and_saveexec_b64 s[6:7], s[4:5]
	s_xor_b64 s[6:7], exec, s[6:7]
	s_cbranch_execz .LBB12_36
; %bb.31:                               ;   in Loop: Header=BB12_30 Depth=1
	v_mov_b32_e32 v12, 0
	v_cmp_ne_u64_e64 s[4:5], 0, v[0:1]
	v_mov_b32_e32 v13, 0
	s_and_saveexec_b64 s[14:15], s[4:5]
	s_cbranch_execz .LBB12_35
; %bb.32:                               ;   in Loop: Header=BB12_30 Depth=1
	v_mov_b32_e32 v12, 0
	s_mov_b32 s22, 0
	s_mov_b64 s[16:17], 0
	v_mov_b32_e32 v13, 0
	s_mov_b64 s[18:19], 0
.LBB12_33:                              ;   Parent Loop BB12_30 Depth=1
                                        ; =>  This Inner Loop Header: Depth=2
	v_add_u32_e32 v3, s22, v48
	buffer_load_ubyte v3, v3, s[0:3], 0 offen
	v_mov_b32_e32 v17, s20
	s_add_i32 s22, s22, 1
	v_cmp_eq_u32_e64 s[4:5], s22, v49
	s_waitcnt vmcnt(0)
	v_and_b32_e32 v16, 0xffff, v3
	v_lshlrev_b64 v[16:17], s18, v[16:17]
	s_add_u32 s18, s18, 8
	s_addc_u32 s19, s19, 0
	v_or_b32_e32 v13, v17, v13
	s_or_b64 s[16:17], s[4:5], s[16:17]
	v_or_b32_e32 v12, v16, v12
	s_andn2_b64 exec, exec, s[16:17]
	s_cbranch_execnz .LBB12_33
; %bb.34:                               ;   in Loop: Header=BB12_30 Depth=1
	s_or_b64 exec, exec, s[16:17]
.LBB12_35:                              ;   in Loop: Header=BB12_30 Depth=1
	s_or_b64 exec, exec, s[14:15]
	v_mov_b32_e32 v16, v48
.LBB12_36:                              ;   in Loop: Header=BB12_30 Depth=1
	s_or_saveexec_b64 s[4:5], s[6:7]
	v_mov_b32_e32 v17, 0
	s_xor_b64 exec, exec, s[4:5]
	s_cbranch_execz .LBB12_38
; %bb.37:                               ;   in Loop: Header=BB12_30 Depth=1
	buffer_load_dword v12, v48, s[0:3], 0 offen
	buffer_load_dword v13, v48, s[0:3], 0 offen offset:4
	v_add_u32_e32 v17, -8, v49
.LBB12_38:                              ;   in Loop: Header=BB12_30 Depth=1
	s_or_b64 exec, exec, s[4:5]
	v_cmp_gt_u32_e64 s[4:5], 8, v17
	v_add_u32_e32 v3, 8, v16
                                        ; implicit-def: $vgpr20_vgpr21
	s_and_saveexec_b64 s[6:7], s[4:5]
	s_xor_b64 s[6:7], exec, s[6:7]
	s_cbranch_execz .LBB12_44
; %bb.39:                               ;   in Loop: Header=BB12_30 Depth=1
	v_mov_b32_e32 v20, 0
	v_mov_b32_e32 v21, 0
	v_cmp_ne_u32_e64 s[4:5], 0, v17
	s_and_saveexec_b64 s[14:15], s[4:5]
	s_cbranch_execz .LBB12_43
; %bb.40:                               ;   in Loop: Header=BB12_30 Depth=1
	v_mov_b32_e32 v20, 0
	s_mov_b32 s22, 0
	s_mov_b64 s[16:17], 0
	v_mov_b32_e32 v21, 0
	s_mov_b64 s[18:19], 0
.LBB12_41:                              ;   Parent Loop BB12_30 Depth=1
                                        ; =>  This Inner Loop Header: Depth=2
	v_add_u32_e32 v3, s22, v16
	buffer_load_ubyte v3, v3, s[0:3], 0 offen
	v_mov_b32_e32 v23, s20
	s_add_i32 s22, s22, 1
	v_cmp_eq_u32_e64 s[4:5], s22, v17
	s_waitcnt vmcnt(0)
	v_and_b32_e32 v22, 0xffff, v3
	v_lshlrev_b64 v[22:23], s18, v[22:23]
	s_add_u32 s18, s18, 8
	s_addc_u32 s19, s19, 0
	v_or_b32_e32 v21, v23, v21
	s_or_b64 s[16:17], s[4:5], s[16:17]
	v_or_b32_e32 v20, v22, v20
	s_andn2_b64 exec, exec, s[16:17]
	s_cbranch_execnz .LBB12_41
; %bb.42:                               ;   in Loop: Header=BB12_30 Depth=1
	s_or_b64 exec, exec, s[16:17]
.LBB12_43:                              ;   in Loop: Header=BB12_30 Depth=1
	s_or_b64 exec, exec, s[14:15]
	v_mov_b32_e32 v3, v16
                                        ; implicit-def: $vgpr17
.LBB12_44:                              ;   in Loop: Header=BB12_30 Depth=1
	s_or_saveexec_b64 s[4:5], s[6:7]
	v_mov_b32_e32 v24, 0
	s_xor_b64 exec, exec, s[4:5]
	s_cbranch_execz .LBB12_46
; %bb.45:                               ;   in Loop: Header=BB12_30 Depth=1
	buffer_load_dword v20, v16, s[0:3], 0 offen
	buffer_load_dword v21, v16, s[0:3], 0 offen offset:4
	v_add_u32_e32 v24, -8, v17
.LBB12_46:                              ;   in Loop: Header=BB12_30 Depth=1
	s_or_b64 exec, exec, s[4:5]
	v_cmp_gt_u32_e64 s[4:5], 8, v24
	v_add_u32_e32 v16, 8, v3
	s_and_saveexec_b64 s[6:7], s[4:5]
	s_xor_b64 s[6:7], exec, s[6:7]
	s_cbranch_execz .LBB12_52
; %bb.47:                               ;   in Loop: Header=BB12_30 Depth=1
	v_mov_b32_e32 v22, 0
	v_mov_b32_e32 v23, 0
	v_cmp_ne_u32_e64 s[4:5], 0, v24
	s_and_saveexec_b64 s[14:15], s[4:5]
	s_cbranch_execz .LBB12_51
; %bb.48:                               ;   in Loop: Header=BB12_30 Depth=1
	v_mov_b32_e32 v22, 0
	s_mov_b32 s22, 0
	s_mov_b64 s[16:17], 0
	v_mov_b32_e32 v23, 0
	s_mov_b64 s[18:19], 0
.LBB12_49:                              ;   Parent Loop BB12_30 Depth=1
                                        ; =>  This Inner Loop Header: Depth=2
	v_add_u32_e32 v16, s22, v3
	buffer_load_ubyte v16, v16, s[0:3], 0 offen
	v_mov_b32_e32 v17, s20
	s_add_i32 s22, s22, 1
	v_cmp_eq_u32_e64 s[4:5], s22, v24
	s_waitcnt vmcnt(0)
	v_and_b32_e32 v16, 0xffff, v16
	v_lshlrev_b64 v[16:17], s18, v[16:17]
	s_add_u32 s18, s18, 8
	s_addc_u32 s19, s19, 0
	v_or_b32_e32 v23, v17, v23
	s_or_b64 s[16:17], s[4:5], s[16:17]
	v_or_b32_e32 v22, v16, v22
	s_andn2_b64 exec, exec, s[16:17]
	s_cbranch_execnz .LBB12_49
; %bb.50:                               ;   in Loop: Header=BB12_30 Depth=1
	s_or_b64 exec, exec, s[16:17]
.LBB12_51:                              ;   in Loop: Header=BB12_30 Depth=1
	s_or_b64 exec, exec, s[14:15]
	v_mov_b32_e32 v16, v3
                                        ; implicit-def: $vgpr24
.LBB12_52:                              ;   in Loop: Header=BB12_30 Depth=1
	s_or_saveexec_b64 s[4:5], s[6:7]
	v_mov_b32_e32 v17, 0
	s_xor_b64 exec, exec, s[4:5]
	s_cbranch_execz .LBB12_54
; %bb.53:                               ;   in Loop: Header=BB12_30 Depth=1
	buffer_load_dword v22, v3, s[0:3], 0 offen
	buffer_load_dword v23, v3, s[0:3], 0 offen offset:4
	v_add_u32_e32 v17, -8, v24
.LBB12_54:                              ;   in Loop: Header=BB12_30 Depth=1
	s_or_b64 exec, exec, s[4:5]
	v_cmp_gt_u32_e64 s[4:5], 8, v17
	v_add_u32_e32 v3, 8, v16
                                        ; implicit-def: $vgpr24_vgpr25
	s_and_saveexec_b64 s[6:7], s[4:5]
	s_xor_b64 s[6:7], exec, s[6:7]
	s_cbranch_execz .LBB12_60
; %bb.55:                               ;   in Loop: Header=BB12_30 Depth=1
	v_mov_b32_e32 v24, 0
	v_mov_b32_e32 v25, 0
	v_cmp_ne_u32_e64 s[4:5], 0, v17
	s_and_saveexec_b64 s[14:15], s[4:5]
	s_cbranch_execz .LBB12_59
; %bb.56:                               ;   in Loop: Header=BB12_30 Depth=1
	v_mov_b32_e32 v24, 0
	s_mov_b32 s22, 0
	s_mov_b64 s[16:17], 0
	v_mov_b32_e32 v25, 0
	s_mov_b64 s[18:19], 0
.LBB12_57:                              ;   Parent Loop BB12_30 Depth=1
                                        ; =>  This Inner Loop Header: Depth=2
	v_add_u32_e32 v3, s22, v16
	buffer_load_ubyte v3, v3, s[0:3], 0 offen
	v_mov_b32_e32 v27, s20
	s_add_i32 s22, s22, 1
	v_cmp_eq_u32_e64 s[4:5], s22, v17
	s_waitcnt vmcnt(0)
	v_and_b32_e32 v26, 0xffff, v3
	v_lshlrev_b64 v[26:27], s18, v[26:27]
	s_add_u32 s18, s18, 8
	s_addc_u32 s19, s19, 0
	v_or_b32_e32 v25, v27, v25
	s_or_b64 s[16:17], s[4:5], s[16:17]
	v_or_b32_e32 v24, v26, v24
	s_andn2_b64 exec, exec, s[16:17]
	s_cbranch_execnz .LBB12_57
; %bb.58:                               ;   in Loop: Header=BB12_30 Depth=1
	s_or_b64 exec, exec, s[16:17]
.LBB12_59:                              ;   in Loop: Header=BB12_30 Depth=1
	s_or_b64 exec, exec, s[14:15]
	v_mov_b32_e32 v3, v16
                                        ; implicit-def: $vgpr17
.LBB12_60:                              ;   in Loop: Header=BB12_30 Depth=1
	s_or_saveexec_b64 s[4:5], s[6:7]
	v_mov_b32_e32 v28, 0
	s_xor_b64 exec, exec, s[4:5]
	s_cbranch_execz .LBB12_62
; %bb.61:                               ;   in Loop: Header=BB12_30 Depth=1
	buffer_load_dword v24, v16, s[0:3], 0 offen
	buffer_load_dword v25, v16, s[0:3], 0 offen offset:4
	v_add_u32_e32 v28, -8, v17
.LBB12_62:                              ;   in Loop: Header=BB12_30 Depth=1
	s_or_b64 exec, exec, s[4:5]
	v_cmp_gt_u32_e64 s[4:5], 8, v28
	v_add_u32_e32 v16, 8, v3
	s_and_saveexec_b64 s[6:7], s[4:5]
	s_xor_b64 s[6:7], exec, s[6:7]
	s_cbranch_execz .LBB12_68
; %bb.63:                               ;   in Loop: Header=BB12_30 Depth=1
	v_mov_b32_e32 v26, 0
	v_mov_b32_e32 v27, 0
	v_cmp_ne_u32_e64 s[4:5], 0, v28
	s_and_saveexec_b64 s[14:15], s[4:5]
	s_cbranch_execz .LBB12_67
; %bb.64:                               ;   in Loop: Header=BB12_30 Depth=1
	v_mov_b32_e32 v26, 0
	s_mov_b32 s22, 0
	s_mov_b64 s[16:17], 0
	v_mov_b32_e32 v27, 0
	s_mov_b64 s[18:19], 0
.LBB12_65:                              ;   Parent Loop BB12_30 Depth=1
                                        ; =>  This Inner Loop Header: Depth=2
	v_add_u32_e32 v16, s22, v3
	buffer_load_ubyte v16, v16, s[0:3], 0 offen
	v_mov_b32_e32 v17, s20
	s_add_i32 s22, s22, 1
	v_cmp_eq_u32_e64 s[4:5], s22, v28
	s_waitcnt vmcnt(0)
	v_and_b32_e32 v16, 0xffff, v16
	v_lshlrev_b64 v[16:17], s18, v[16:17]
	s_add_u32 s18, s18, 8
	s_addc_u32 s19, s19, 0
	v_or_b32_e32 v27, v17, v27
	s_or_b64 s[16:17], s[4:5], s[16:17]
	v_or_b32_e32 v26, v16, v26
	s_andn2_b64 exec, exec, s[16:17]
	s_cbranch_execnz .LBB12_65
; %bb.66:                               ;   in Loop: Header=BB12_30 Depth=1
	s_or_b64 exec, exec, s[16:17]
.LBB12_67:                              ;   in Loop: Header=BB12_30 Depth=1
	s_or_b64 exec, exec, s[14:15]
	v_mov_b32_e32 v16, v3
                                        ; implicit-def: $vgpr28
.LBB12_68:                              ;   in Loop: Header=BB12_30 Depth=1
	s_or_saveexec_b64 s[4:5], s[6:7]
	v_mov_b32_e32 v17, 0
	s_xor_b64 exec, exec, s[4:5]
	s_cbranch_execz .LBB12_70
; %bb.69:                               ;   in Loop: Header=BB12_30 Depth=1
	buffer_load_dword v26, v3, s[0:3], 0 offen
	buffer_load_dword v27, v3, s[0:3], 0 offen offset:4
	v_add_u32_e32 v17, -8, v28
.LBB12_70:                              ;   in Loop: Header=BB12_30 Depth=1
	s_or_b64 exec, exec, s[4:5]
	v_cmp_gt_u32_e64 s[4:5], 8, v17
	v_add_u32_e32 v3, 8, v16
                                        ; implicit-def: $vgpr28_vgpr29
	s_and_saveexec_b64 s[6:7], s[4:5]
	s_xor_b64 s[6:7], exec, s[6:7]
	s_cbranch_execz .LBB12_76
; %bb.71:                               ;   in Loop: Header=BB12_30 Depth=1
	v_mov_b32_e32 v28, 0
	v_mov_b32_e32 v29, 0
	v_cmp_ne_u32_e64 s[4:5], 0, v17
	s_and_saveexec_b64 s[14:15], s[4:5]
	s_cbranch_execz .LBB12_75
; %bb.72:                               ;   in Loop: Header=BB12_30 Depth=1
	v_mov_b32_e32 v28, 0
	s_mov_b32 s22, 0
	s_mov_b64 s[16:17], 0
	v_mov_b32_e32 v29, 0
	s_mov_b64 s[18:19], 0
.LBB12_73:                              ;   Parent Loop BB12_30 Depth=1
                                        ; =>  This Inner Loop Header: Depth=2
	v_add_u32_e32 v3, s22, v16
	buffer_load_ubyte v3, v3, s[0:3], 0 offen
	v_mov_b32_e32 v31, s20
	s_add_i32 s22, s22, 1
	v_cmp_eq_u32_e64 s[4:5], s22, v17
	s_waitcnt vmcnt(0)
	v_and_b32_e32 v30, 0xffff, v3
	v_lshlrev_b64 v[30:31], s18, v[30:31]
	s_add_u32 s18, s18, 8
	s_addc_u32 s19, s19, 0
	v_or_b32_e32 v29, v31, v29
	s_or_b64 s[16:17], s[4:5], s[16:17]
	v_or_b32_e32 v28, v30, v28
	s_andn2_b64 exec, exec, s[16:17]
	s_cbranch_execnz .LBB12_73
; %bb.74:                               ;   in Loop: Header=BB12_30 Depth=1
	s_or_b64 exec, exec, s[16:17]
.LBB12_75:                              ;   in Loop: Header=BB12_30 Depth=1
	s_or_b64 exec, exec, s[14:15]
	v_mov_b32_e32 v3, v16
                                        ; implicit-def: $vgpr17
.LBB12_76:                              ;   in Loop: Header=BB12_30 Depth=1
	s_or_saveexec_b64 s[4:5], s[6:7]
	v_mov_b32_e32 v32, 0
	s_xor_b64 exec, exec, s[4:5]
	s_cbranch_execz .LBB12_78
; %bb.77:                               ;   in Loop: Header=BB12_30 Depth=1
	buffer_load_dword v28, v16, s[0:3], 0 offen
	buffer_load_dword v29, v16, s[0:3], 0 offen offset:4
	v_add_u32_e32 v32, -8, v17
.LBB12_78:                              ;   in Loop: Header=BB12_30 Depth=1
	s_or_b64 exec, exec, s[4:5]
	v_cmp_gt_u32_e64 s[4:5], 8, v32
	s_and_saveexec_b64 s[6:7], s[4:5]
	s_xor_b64 s[6:7], exec, s[6:7]
	s_cbranch_execz .LBB12_84
; %bb.79:                               ;   in Loop: Header=BB12_30 Depth=1
	v_mov_b32_e32 v30, 0
	v_mov_b32_e32 v31, 0
	v_cmp_ne_u32_e64 s[4:5], 0, v32
	s_and_saveexec_b64 s[14:15], s[4:5]
	s_cbranch_execz .LBB12_83
; %bb.80:                               ;   in Loop: Header=BB12_30 Depth=1
	v_mov_b32_e32 v30, 0
	s_mov_b64 s[16:17], 0
	v_mov_b32_e32 v31, 0
	s_mov_b64 s[18:19], 0
.LBB12_81:                              ;   Parent Loop BB12_30 Depth=1
                                        ; =>  This Inner Loop Header: Depth=2
	buffer_load_ubyte v16, v3, s[0:3], 0 offen
	v_mov_b32_e32 v17, s20
	v_add_u32_e32 v32, -1, v32
	v_cmp_eq_u32_e64 s[4:5], 0, v32
	v_add_u32_e32 v3, 1, v3
	s_waitcnt vmcnt(0)
	v_and_b32_e32 v16, 0xffff, v16
	v_lshlrev_b64 v[16:17], s18, v[16:17]
	s_add_u32 s18, s18, 8
	s_addc_u32 s19, s19, 0
	v_or_b32_e32 v31, v17, v31
	s_or_b64 s[16:17], s[4:5], s[16:17]
	v_or_b32_e32 v30, v16, v30
	s_andn2_b64 exec, exec, s[16:17]
	s_cbranch_execnz .LBB12_81
; %bb.82:                               ;   in Loop: Header=BB12_30 Depth=1
	s_or_b64 exec, exec, s[16:17]
.LBB12_83:                              ;   in Loop: Header=BB12_30 Depth=1
	s_or_b64 exec, exec, s[14:15]
                                        ; implicit-def: $vgpr3
.LBB12_84:                              ;   in Loop: Header=BB12_30 Depth=1
	s_andn2_saveexec_b64 s[4:5], s[6:7]
	s_cbranch_execz .LBB12_86
; %bb.85:                               ;   in Loop: Header=BB12_30 Depth=1
	buffer_load_dword v30, v3, s[0:3], 0 offen
	buffer_load_dword v31, v3, s[0:3], 0 offen offset:4
.LBB12_86:                              ;   in Loop: Header=BB12_30 Depth=1
	s_or_b64 exec, exec, s[4:5]
	v_readfirstlane_b32 s4, v38
	v_mov_b32_e32 v16, 0
	v_mov_b32_e32 v17, 0
	v_cmp_eq_u32_e64 s[4:5], s4, v38
	s_and_saveexec_b64 s[14:15], s[4:5]
	s_cbranch_execz .LBB12_92
; %bb.87:                               ;   in Loop: Header=BB12_30 Depth=1
	global_load_dwordx2 v[34:35], v4, s[10:11] offset:24 glc
	s_waitcnt vmcnt(0)
	buffer_wbinvl1_vol
	global_load_dwordx2 v[16:17], v4, s[10:11] offset:40
	global_load_dwordx2 v[32:33], v4, s[10:11]
	s_waitcnt vmcnt(1)
	v_and_b32_e32 v3, v16, v34
	v_and_b32_e32 v16, v17, v35
	v_mul_lo_u32 v16, v16, 24
	v_mul_hi_u32 v17, v3, 24
	v_mul_lo_u32 v3, v3, 24
	v_add_u32_e32 v17, v17, v16
	s_waitcnt vmcnt(0)
	v_add_co_u32_e64 v16, s[6:7], v32, v3
	v_addc_co_u32_e64 v17, s[6:7], v33, v17, s[6:7]
	global_load_dwordx2 v[32:33], v[16:17], off glc
	s_waitcnt vmcnt(0)
	global_atomic_cmpswap_x2 v[16:17], v4, v[32:35], s[10:11] offset:24 glc
	s_waitcnt vmcnt(0)
	buffer_wbinvl1_vol
	v_cmp_ne_u64_e64 s[6:7], v[16:17], v[34:35]
	s_and_saveexec_b64 s[16:17], s[6:7]
	s_cbranch_execz .LBB12_91
; %bb.88:                               ;   in Loop: Header=BB12_30 Depth=1
	s_mov_b64 s[18:19], 0
.LBB12_89:                              ;   Parent Loop BB12_30 Depth=1
                                        ; =>  This Inner Loop Header: Depth=2
	s_sleep 1
	global_load_dwordx2 v[32:33], v4, s[10:11] offset:40
	global_load_dwordx2 v[36:37], v4, s[10:11]
	v_mov_b32_e32 v35, v17
	v_mov_b32_e32 v34, v16
	s_waitcnt vmcnt(1)
	v_and_b32_e32 v3, v32, v34
	s_waitcnt vmcnt(0)
	v_mad_u64_u32 v[16:17], s[6:7], v3, 24, v[36:37]
	v_and_b32_e32 v32, v33, v35
	v_mov_b32_e32 v3, v17
	v_mad_u64_u32 v[32:33], s[6:7], v32, 24, v[3:4]
	v_mov_b32_e32 v17, v32
	global_load_dwordx2 v[32:33], v[16:17], off glc
	s_waitcnt vmcnt(0)
	global_atomic_cmpswap_x2 v[16:17], v4, v[32:35], s[10:11] offset:24 glc
	s_waitcnt vmcnt(0)
	buffer_wbinvl1_vol
	v_cmp_eq_u64_e64 s[6:7], v[16:17], v[34:35]
	s_or_b64 s[18:19], s[6:7], s[18:19]
	s_andn2_b64 exec, exec, s[18:19]
	s_cbranch_execnz .LBB12_89
; %bb.90:                               ;   in Loop: Header=BB12_30 Depth=1
	s_or_b64 exec, exec, s[18:19]
.LBB12_91:                              ;   in Loop: Header=BB12_30 Depth=1
	s_or_b64 exec, exec, s[16:17]
.LBB12_92:                              ;   in Loop: Header=BB12_30 Depth=1
	s_or_b64 exec, exec, s[14:15]
	global_load_dwordx2 v[36:37], v4, s[10:11] offset:40
	global_load_dwordx4 v[32:35], v4, s[10:11]
	v_readfirstlane_b32 s7, v17
	v_readfirstlane_b32 s6, v16
	v_cndmask_b32_e32 v50, 0, v1, vcc
	s_mov_b64 s[14:15], exec
	s_waitcnt vmcnt(1)
	v_readfirstlane_b32 s16, v36
	v_readfirstlane_b32 s17, v37
	s_and_b64 s[16:17], s[16:17], s[6:7]
	s_mul_i32 s18, s17, 24
	s_mul_hi_u32 s19, s16, 24
	s_mul_i32 s22, s16, 24
	s_add_i32 s18, s19, s18
	v_mov_b32_e32 v3, s18
	s_waitcnt vmcnt(0)
	v_add_co_u32_e32 v36, vcc, s22, v32
	v_addc_co_u32_e32 v37, vcc, v33, v3, vcc
	s_and_saveexec_b64 s[18:19], s[4:5]
	s_cbranch_execz .LBB12_94
; %bb.93:                               ;   in Loop: Header=BB12_30 Depth=1
	v_mov_b32_e32 v17, s15
	v_mov_b32_e32 v16, s14
	global_store_dwordx4 v[36:37], v[16:19], off offset:8
.LBB12_94:                              ;   in Loop: Header=BB12_30 Depth=1
	s_or_b64 exec, exec, s[18:19]
	s_lshl_b64 s[14:15], s[16:17], 12
	v_mov_b32_e32 v3, s15
	v_add_co_u32_e32 v34, vcc, s14, v34
	v_addc_co_u32_e32 v35, vcc, v35, v3, vcc
	v_cmp_gt_u64_e32 vcc, 57, v[0:1]
	v_and_b32_e32 v10, 0xffffff1f, v10
	v_cndmask_b32_e32 v3, 0, v5, vcc
	v_lshl_add_u32 v16, v49, 2, 28
	v_or_b32_e32 v3, v10, v3
	v_and_or_b32 v10, v16, s21, v3
	v_readfirstlane_b32 s14, v34
	v_readfirstlane_b32 s15, v35
	s_nop 4
	global_store_dwordx4 v39, v[10:13], s[14:15]
	global_store_dwordx4 v39, v[20:23], s[14:15] offset:16
	global_store_dwordx4 v39, v[24:27], s[14:15] offset:32
	;; [unrolled: 1-line block ×3, first 2 shown]
	s_and_saveexec_b64 s[14:15], s[4:5]
	s_cbranch_execz .LBB12_102
; %bb.95:                               ;   in Loop: Header=BB12_30 Depth=1
	global_load_dwordx2 v[22:23], v4, s[10:11] offset:32 glc
	global_load_dwordx2 v[10:11], v4, s[10:11] offset:40
	v_mov_b32_e32 v20, s6
	v_mov_b32_e32 v21, s7
	s_waitcnt vmcnt(0)
	v_readfirstlane_b32 s16, v10
	v_readfirstlane_b32 s17, v11
	s_and_b64 s[16:17], s[16:17], s[6:7]
	s_mul_i32 s17, s17, 24
	s_mul_hi_u32 s18, s16, 24
	s_mul_i32 s16, s16, 24
	s_add_i32 s17, s18, s17
	v_mov_b32_e32 v3, s17
	v_add_co_u32_e32 v16, vcc, s16, v32
	v_addc_co_u32_e32 v17, vcc, v33, v3, vcc
	global_store_dwordx2 v[16:17], v[22:23], off
	s_waitcnt vmcnt(0)
	global_atomic_cmpswap_x2 v[12:13], v4, v[20:23], s[10:11] offset:32 glc
	s_waitcnt vmcnt(0)
	v_cmp_ne_u64_e32 vcc, v[12:13], v[22:23]
	s_and_saveexec_b64 s[16:17], vcc
	s_cbranch_execz .LBB12_98
; %bb.96:                               ;   in Loop: Header=BB12_30 Depth=1
	s_mov_b64 s[18:19], 0
.LBB12_97:                              ;   Parent Loop BB12_30 Depth=1
                                        ; =>  This Inner Loop Header: Depth=2
	s_sleep 1
	global_store_dwordx2 v[16:17], v[12:13], off
	v_mov_b32_e32 v10, s6
	v_mov_b32_e32 v11, s7
	s_waitcnt vmcnt(0)
	global_atomic_cmpswap_x2 v[10:11], v4, v[10:13], s[10:11] offset:32 glc
	s_waitcnt vmcnt(0)
	v_cmp_eq_u64_e32 vcc, v[10:11], v[12:13]
	v_mov_b32_e32 v13, v11
	s_or_b64 s[18:19], vcc, s[18:19]
	v_mov_b32_e32 v12, v10
	s_andn2_b64 exec, exec, s[18:19]
	s_cbranch_execnz .LBB12_97
.LBB12_98:                              ;   in Loop: Header=BB12_30 Depth=1
	s_or_b64 exec, exec, s[16:17]
	global_load_dwordx2 v[10:11], v4, s[10:11] offset:16
	s_mov_b64 s[18:19], exec
	v_mbcnt_lo_u32_b32 v3, s18, 0
	v_mbcnt_hi_u32_b32 v3, s19, v3
	v_cmp_eq_u32_e32 vcc, 0, v3
	s_and_saveexec_b64 s[16:17], vcc
	s_cbranch_execz .LBB12_100
; %bb.99:                               ;   in Loop: Header=BB12_30 Depth=1
	s_bcnt1_i32_b64 s18, s[18:19]
	v_mov_b32_e32 v3, s18
	s_waitcnt vmcnt(0)
	global_atomic_add_x2 v[10:11], v[3:4], off offset:8
.LBB12_100:                             ;   in Loop: Header=BB12_30 Depth=1
	s_or_b64 exec, exec, s[16:17]
	s_waitcnt vmcnt(0)
	global_load_dwordx2 v[12:13], v[10:11], off offset:16
	s_waitcnt vmcnt(0)
	v_cmp_eq_u64_e32 vcc, 0, v[12:13]
	s_cbranch_vccnz .LBB12_102
; %bb.101:                              ;   in Loop: Header=BB12_30 Depth=1
	global_load_dword v3, v[10:11], off offset:24
	s_waitcnt vmcnt(0)
	v_readfirstlane_b32 s16, v3
	s_and_b32 m0, s16, 0xffffff
	global_store_dwordx2 v[12:13], v[3:4], off
	s_sendmsg sendmsg(MSG_INTERRUPT)
.LBB12_102:                             ;   in Loop: Header=BB12_30 Depth=1
	s_or_b64 exec, exec, s[14:15]
	v_add_co_u32_e32 v10, vcc, v34, v39
	v_addc_co_u32_e32 v11, vcc, 0, v35, vcc
	s_branch .LBB12_106
.LBB12_103:                             ;   in Loop: Header=BB12_106 Depth=2
	s_or_b64 exec, exec, s[14:15]
	v_readfirstlane_b32 s14, v3
	s_cmp_eq_u32 s14, 0
	s_cbranch_scc1 .LBB12_105
; %bb.104:                              ;   in Loop: Header=BB12_106 Depth=2
	s_sleep 1
	s_cbranch_execnz .LBB12_106
	s_branch .LBB12_108
.LBB12_105:                             ;   in Loop: Header=BB12_30 Depth=1
	s_branch .LBB12_108
.LBB12_106:                             ;   Parent Loop BB12_30 Depth=1
                                        ; =>  This Inner Loop Header: Depth=2
	v_mov_b32_e32 v3, 1
	s_and_saveexec_b64 s[14:15], s[4:5]
	s_cbranch_execz .LBB12_103
; %bb.107:                              ;   in Loop: Header=BB12_106 Depth=2
	global_load_dword v3, v[36:37], off offset:20 glc
	s_waitcnt vmcnt(0)
	buffer_wbinvl1_vol
	v_and_b32_e32 v3, 1, v3
	s_branch .LBB12_103
.LBB12_108:                             ;   in Loop: Header=BB12_30 Depth=1
	global_load_dwordx2 v[10:11], v[10:11], off
	s_and_saveexec_b64 s[14:15], s[4:5]
	s_cbranch_execz .LBB12_29
; %bb.109:                              ;   in Loop: Header=BB12_30 Depth=1
	global_load_dwordx2 v[12:13], v4, s[10:11] offset:40
	global_load_dwordx2 v[24:25], v4, s[10:11] offset:24 glc
	global_load_dwordx2 v[16:17], v4, s[10:11]
	s_waitcnt vmcnt(2)
	v_readfirstlane_b32 s16, v12
	v_readfirstlane_b32 s17, v13
	s_add_u32 s18, s16, 1
	s_addc_u32 s19, s17, 0
	s_add_u32 s4, s18, s6
	s_addc_u32 s5, s19, s7
	s_cmp_eq_u64 s[4:5], 0
	s_cselect_b32 s5, s19, s5
	s_cselect_b32 s4, s18, s4
	s_and_b64 s[6:7], s[4:5], s[16:17]
	s_mul_i32 s7, s7, 24
	s_mul_hi_u32 s16, s6, 24
	s_mul_i32 s6, s6, 24
	s_add_i32 s7, s16, s7
	v_mov_b32_e32 v3, s7
	s_waitcnt vmcnt(0)
	v_add_co_u32_e32 v12, vcc, s6, v16
	v_addc_co_u32_e32 v13, vcc, v17, v3, vcc
	v_mov_b32_e32 v22, s4
	global_store_dwordx2 v[12:13], v[24:25], off
	v_mov_b32_e32 v23, s5
	s_waitcnt vmcnt(0)
	global_atomic_cmpswap_x2 v[22:23], v4, v[22:25], s[10:11] offset:24 glc
	s_waitcnt vmcnt(0)
	v_cmp_ne_u64_e32 vcc, v[22:23], v[24:25]
	s_and_b64 exec, exec, vcc
	s_cbranch_execz .LBB12_29
; %bb.110:                              ;   in Loop: Header=BB12_30 Depth=1
	s_mov_b64 s[6:7], 0
.LBB12_111:                             ;   Parent Loop BB12_30 Depth=1
                                        ; =>  This Inner Loop Header: Depth=2
	s_sleep 1
	global_store_dwordx2 v[12:13], v[22:23], off
	v_mov_b32_e32 v20, s4
	v_mov_b32_e32 v21, s5
	s_waitcnt vmcnt(0)
	global_atomic_cmpswap_x2 v[16:17], v4, v[20:23], s[10:11] offset:24 glc
	s_waitcnt vmcnt(0)
	v_cmp_eq_u64_e32 vcc, v[16:17], v[22:23]
	v_mov_b32_e32 v23, v17
	s_or_b64 s[6:7], vcc, s[6:7]
	v_mov_b32_e32 v22, v16
	s_andn2_b64 exec, exec, s[6:7]
	s_cbranch_execnz .LBB12_111
	s_branch .LBB12_29
.LBB12_112:
                                        ; implicit-def: $vgpr10_vgpr11
	s_cbranch_execnz .LBB12_114
	s_branch .LBB12_140
.LBB12_113:
	s_or_b64 exec, exec, s[12:13]
	s_branch .LBB12_140
.LBB12_114:
	v_readfirstlane_b32 s4, v38
	v_mov_b32_e32 v0, 0
	v_mov_b32_e32 v1, 0
	v_cmp_eq_u32_e64 s[4:5], s4, v38
	s_and_saveexec_b64 s[6:7], s[4:5]
	s_cbranch_execz .LBB12_120
; %bb.115:
	v_mov_b32_e32 v3, 0
	global_load_dwordx2 v[12:13], v3, s[10:11] offset:24 glc
	s_waitcnt vmcnt(0)
	buffer_wbinvl1_vol
	global_load_dwordx2 v[0:1], v3, s[10:11] offset:40
	global_load_dwordx2 v[4:5], v3, s[10:11]
	s_waitcnt vmcnt(1)
	v_and_b32_e32 v0, v0, v12
	v_and_b32_e32 v1, v1, v13
	v_mul_lo_u32 v1, v1, 24
	v_mul_hi_u32 v10, v0, 24
	v_mul_lo_u32 v0, v0, 24
	v_add_u32_e32 v1, v10, v1
	s_waitcnt vmcnt(0)
	v_add_co_u32_e32 v0, vcc, v4, v0
	v_addc_co_u32_e32 v1, vcc, v5, v1, vcc
	global_load_dwordx2 v[10:11], v[0:1], off glc
	s_waitcnt vmcnt(0)
	global_atomic_cmpswap_x2 v[0:1], v3, v[10:13], s[10:11] offset:24 glc
	s_waitcnt vmcnt(0)
	buffer_wbinvl1_vol
	v_cmp_ne_u64_e32 vcc, v[0:1], v[12:13]
	s_and_saveexec_b64 s[12:13], vcc
	s_cbranch_execz .LBB12_119
; %bb.116:
	s_mov_b64 s[14:15], 0
.LBB12_117:                             ; =>This Inner Loop Header: Depth=1
	s_sleep 1
	global_load_dwordx2 v[4:5], v3, s[10:11] offset:40
	global_load_dwordx2 v[10:11], v3, s[10:11]
	v_mov_b32_e32 v13, v1
	v_mov_b32_e32 v12, v0
	s_waitcnt vmcnt(1)
	v_and_b32_e32 v0, v4, v12
	s_waitcnt vmcnt(0)
	v_mad_u64_u32 v[0:1], s[16:17], v0, 24, v[10:11]
	v_and_b32_e32 v4, v5, v13
	v_mad_u64_u32 v[4:5], s[16:17], v4, 24, v[1:2]
	v_mov_b32_e32 v1, v4
	global_load_dwordx2 v[10:11], v[0:1], off glc
	s_waitcnt vmcnt(0)
	global_atomic_cmpswap_x2 v[0:1], v3, v[10:13], s[10:11] offset:24 glc
	s_waitcnt vmcnt(0)
	buffer_wbinvl1_vol
	v_cmp_eq_u64_e32 vcc, v[0:1], v[12:13]
	s_or_b64 s[14:15], vcc, s[14:15]
	s_andn2_b64 exec, exec, s[14:15]
	s_cbranch_execnz .LBB12_117
; %bb.118:
	s_or_b64 exec, exec, s[14:15]
.LBB12_119:
	s_or_b64 exec, exec, s[12:13]
.LBB12_120:
	s_or_b64 exec, exec, s[6:7]
	v_mov_b32_e32 v16, 0
	global_load_dwordx2 v[3:4], v16, s[10:11] offset:40
	global_load_dwordx4 v[10:13], v16, s[10:11]
	v_readfirstlane_b32 s7, v1
	v_readfirstlane_b32 s6, v0
	s_mov_b64 s[12:13], exec
	s_waitcnt vmcnt(1)
	v_readfirstlane_b32 s14, v3
	v_readfirstlane_b32 s15, v4
	s_and_b64 s[14:15], s[14:15], s[6:7]
	s_mul_i32 s16, s15, 24
	s_mul_hi_u32 s17, s14, 24
	s_mul_i32 s18, s14, 24
	s_add_i32 s16, s17, s16
	v_mov_b32_e32 v1, s16
	s_waitcnt vmcnt(0)
	v_add_co_u32_e32 v0, vcc, s18, v10
	v_addc_co_u32_e32 v1, vcc, v11, v1, vcc
	s_and_saveexec_b64 s[16:17], s[4:5]
	s_cbranch_execz .LBB12_122
; %bb.121:
	v_mov_b32_e32 v18, s13
	v_mov_b32_e32 v17, s12
	;; [unrolled: 1-line block ×4, first 2 shown]
	global_store_dwordx4 v[0:1], v[17:20], off offset:8
.LBB12_122:
	s_or_b64 exec, exec, s[16:17]
	s_lshl_b64 s[12:13], s[14:15], 12
	v_mov_b32_e32 v3, s13
	v_add_co_u32_e32 v5, vcc, s12, v12
	v_addc_co_u32_e32 v12, vcc, v13, v3, vcc
	s_movk_i32 s12, 0xff1f
	v_and_or_b32 v14, v14, s12, 32
	v_add_co_u32_e32 v3, vcc, v5, v39
	s_mov_b32 s12, 0
	v_mov_b32_e32 v17, v16
	v_readfirstlane_b32 s16, v5
	v_readfirstlane_b32 s17, v12
	v_addc_co_u32_e32 v4, vcc, 0, v12, vcc
	s_mov_b32 s13, s12
	s_mov_b32 s14, s12
	;; [unrolled: 1-line block ×3, first 2 shown]
	s_nop 0
	global_store_dwordx4 v39, v[14:17], s[16:17]
	v_mov_b32_e32 v12, s12
	v_mov_b32_e32 v13, s13
	;; [unrolled: 1-line block ×4, first 2 shown]
	global_store_dwordx4 v39, v[12:15], s[16:17] offset:16
	global_store_dwordx4 v39, v[12:15], s[16:17] offset:32
	;; [unrolled: 1-line block ×3, first 2 shown]
	s_and_saveexec_b64 s[12:13], s[4:5]
	s_cbranch_execz .LBB12_130
; %bb.123:
	v_mov_b32_e32 v5, 0
	global_load_dwordx2 v[18:19], v5, s[10:11] offset:32 glc
	global_load_dwordx2 v[12:13], v5, s[10:11] offset:40
	v_mov_b32_e32 v16, s6
	v_mov_b32_e32 v17, s7
	s_waitcnt vmcnt(0)
	v_readfirstlane_b32 s14, v12
	v_readfirstlane_b32 s15, v13
	s_and_b64 s[14:15], s[14:15], s[6:7]
	s_mul_i32 s15, s15, 24
	s_mul_hi_u32 s16, s14, 24
	s_mul_i32 s14, s14, 24
	s_add_i32 s15, s16, s15
	v_mov_b32_e32 v12, s15
	v_add_co_u32_e32 v14, vcc, s14, v10
	v_addc_co_u32_e32 v15, vcc, v11, v12, vcc
	global_store_dwordx2 v[14:15], v[18:19], off
	s_waitcnt vmcnt(0)
	global_atomic_cmpswap_x2 v[12:13], v5, v[16:19], s[10:11] offset:32 glc
	s_waitcnt vmcnt(0)
	v_cmp_ne_u64_e32 vcc, v[12:13], v[18:19]
	s_and_saveexec_b64 s[14:15], vcc
	s_cbranch_execz .LBB12_126
; %bb.124:
	s_mov_b64 s[16:17], 0
.LBB12_125:                             ; =>This Inner Loop Header: Depth=1
	s_sleep 1
	global_store_dwordx2 v[14:15], v[12:13], off
	v_mov_b32_e32 v10, s6
	v_mov_b32_e32 v11, s7
	s_waitcnt vmcnt(0)
	global_atomic_cmpswap_x2 v[10:11], v5, v[10:13], s[10:11] offset:32 glc
	s_waitcnt vmcnt(0)
	v_cmp_eq_u64_e32 vcc, v[10:11], v[12:13]
	v_mov_b32_e32 v13, v11
	s_or_b64 s[16:17], vcc, s[16:17]
	v_mov_b32_e32 v12, v10
	s_andn2_b64 exec, exec, s[16:17]
	s_cbranch_execnz .LBB12_125
.LBB12_126:
	s_or_b64 exec, exec, s[14:15]
	v_mov_b32_e32 v13, 0
	global_load_dwordx2 v[10:11], v13, s[10:11] offset:16
	s_mov_b64 s[14:15], exec
	v_mbcnt_lo_u32_b32 v5, s14, 0
	v_mbcnt_hi_u32_b32 v5, s15, v5
	v_cmp_eq_u32_e32 vcc, 0, v5
	s_and_saveexec_b64 s[16:17], vcc
	s_cbranch_execz .LBB12_128
; %bb.127:
	s_bcnt1_i32_b64 s14, s[14:15]
	v_mov_b32_e32 v12, s14
	s_waitcnt vmcnt(0)
	global_atomic_add_x2 v[10:11], v[12:13], off offset:8
.LBB12_128:
	s_or_b64 exec, exec, s[16:17]
	s_waitcnt vmcnt(0)
	global_load_dwordx2 v[12:13], v[10:11], off offset:16
	s_waitcnt vmcnt(0)
	v_cmp_eq_u64_e32 vcc, 0, v[12:13]
	s_cbranch_vccnz .LBB12_130
; %bb.129:
	global_load_dword v10, v[10:11], off offset:24
	v_mov_b32_e32 v11, 0
	s_waitcnt vmcnt(0)
	v_readfirstlane_b32 s14, v10
	s_and_b32 m0, s14, 0xffffff
	global_store_dwordx2 v[12:13], v[10:11], off
	s_sendmsg sendmsg(MSG_INTERRUPT)
.LBB12_130:
	s_or_b64 exec, exec, s[12:13]
	s_branch .LBB12_134
.LBB12_131:                             ;   in Loop: Header=BB12_134 Depth=1
	s_or_b64 exec, exec, s[12:13]
	v_readfirstlane_b32 s12, v5
	s_cmp_eq_u32 s12, 0
	s_cbranch_scc1 .LBB12_133
; %bb.132:                              ;   in Loop: Header=BB12_134 Depth=1
	s_sleep 1
	s_cbranch_execnz .LBB12_134
	s_branch .LBB12_136
.LBB12_133:
	s_branch .LBB12_136
.LBB12_134:                             ; =>This Inner Loop Header: Depth=1
	v_mov_b32_e32 v5, 1
	s_and_saveexec_b64 s[12:13], s[4:5]
	s_cbranch_execz .LBB12_131
; %bb.135:                              ;   in Loop: Header=BB12_134 Depth=1
	global_load_dword v5, v[0:1], off offset:20 glc
	s_waitcnt vmcnt(0)
	buffer_wbinvl1_vol
	v_and_b32_e32 v5, 1, v5
	s_branch .LBB12_131
.LBB12_136:
	global_load_dwordx2 v[10:11], v[3:4], off
	s_and_saveexec_b64 s[12:13], s[4:5]
	s_cbranch_execz .LBB12_139
; %bb.137:
	v_mov_b32_e32 v3, 0
	global_load_dwordx2 v[0:1], v3, s[10:11] offset:40
	global_load_dwordx2 v[16:17], v3, s[10:11] offset:24 glc
	global_load_dwordx2 v[4:5], v3, s[10:11]
	s_waitcnt vmcnt(2)
	v_readfirstlane_b32 s14, v0
	v_readfirstlane_b32 s15, v1
	s_add_u32 s16, s14, 1
	s_addc_u32 s17, s15, 0
	s_add_u32 s4, s16, s6
	s_addc_u32 s5, s17, s7
	s_cmp_eq_u64 s[4:5], 0
	s_cselect_b32 s5, s17, s5
	s_cselect_b32 s4, s16, s4
	s_and_b64 s[6:7], s[4:5], s[14:15]
	s_mul_i32 s7, s7, 24
	s_mul_hi_u32 s14, s6, 24
	s_mul_i32 s6, s6, 24
	s_add_i32 s7, s14, s7
	v_mov_b32_e32 v1, s7
	s_waitcnt vmcnt(0)
	v_add_co_u32_e32 v0, vcc, s6, v4
	v_addc_co_u32_e32 v1, vcc, v5, v1, vcc
	v_mov_b32_e32 v14, s4
	global_store_dwordx2 v[0:1], v[16:17], off
	v_mov_b32_e32 v15, s5
	s_waitcnt vmcnt(0)
	global_atomic_cmpswap_x2 v[14:15], v3, v[14:17], s[10:11] offset:24 glc
	s_mov_b64 s[6:7], 0
	s_waitcnt vmcnt(0)
	v_cmp_ne_u64_e32 vcc, v[14:15], v[16:17]
	s_and_b64 exec, exec, vcc
	s_cbranch_execz .LBB12_139
.LBB12_138:                             ; =>This Inner Loop Header: Depth=1
	s_sleep 1
	global_store_dwordx2 v[0:1], v[14:15], off
	v_mov_b32_e32 v12, s4
	v_mov_b32_e32 v13, s5
	s_waitcnt vmcnt(0)
	global_atomic_cmpswap_x2 v[4:5], v3, v[12:15], s[10:11] offset:24 glc
	s_waitcnt vmcnt(0)
	v_cmp_eq_u64_e32 vcc, v[4:5], v[14:15]
	v_mov_b32_e32 v15, v5
	s_or_b64 s[6:7], vcc, s[6:7]
	v_mov_b32_e32 v14, v4
	s_andn2_b64 exec, exec, s[6:7]
	s_cbranch_execnz .LBB12_138
.LBB12_139:
	s_or_b64 exec, exec, s[12:13]
.LBB12_140:
	s_getpc_b64 s[6:7]
	s_add_u32 s6, s6, .str.6@rel32@lo+4
	s_addc_u32 s7, s7, .str.6@rel32@hi+12
	s_cmp_lg_u64 s[6:7], 0
	s_cbranch_scc0 .LBB12_225
; %bb.141:
	s_getpc_b64 s[4:5]
	s_add_u32 s4, s4, .str.6@rel32@lo+95
	s_addc_u32 s5, s5, .str.6@rel32@hi+103
	s_sub_i32 s12, s4, s6
	s_ashr_i32 s13, s12, 31
	s_waitcnt vmcnt(0)
	v_and_b32_e32 v5, 2, v10
	v_mov_b32_e32 v1, 0
	v_and_b32_e32 v12, -3, v10
	v_mov_b32_e32 v13, v11
	v_mov_b32_e32 v18, 2
	v_mov_b32_e32 v19, 1
	s_branch .LBB12_143
.LBB12_142:                             ;   in Loop: Header=BB12_143 Depth=1
	s_or_b64 exec, exec, s[18:19]
	s_sub_u32 s12, s12, s14
	s_subb_u32 s13, s13, s15
	s_add_u32 s6, s6, s14
	s_addc_u32 s7, s7, s15
	s_cmp_lg_u64 s[12:13], 0
	s_cbranch_scc0 .LBB12_226
.LBB12_143:                             ; =>This Loop Header: Depth=1
                                        ;     Child Loop BB12_146 Depth 2
                                        ;     Child Loop BB12_154 Depth 2
	;; [unrolled: 1-line block ×11, first 2 shown]
	v_cmp_lt_u64_e64 s[4:5], s[12:13], 56
	v_cmp_gt_u64_e64 s[16:17], s[12:13], 7
	s_and_b64 s[4:5], s[4:5], exec
	s_cselect_b32 s15, s13, 0
	s_cselect_b32 s14, s12, 56
	s_add_u32 s4, s6, 8
	s_addc_u32 s5, s7, 0
	s_and_b64 vcc, exec, s[16:17]
	s_cbranch_vccnz .LBB12_147
; %bb.144:                              ;   in Loop: Header=BB12_143 Depth=1
	s_cmp_eq_u64 s[12:13], 0
	s_cbranch_scc1 .LBB12_148
; %bb.145:                              ;   in Loop: Header=BB12_143 Depth=1
	v_mov_b32_e32 v14, 0
	s_lshl_b64 s[4:5], s[14:15], 3
	s_mov_b64 s[16:17], 0
	v_mov_b32_e32 v15, 0
	s_mov_b64 s[18:19], s[6:7]
.LBB12_146:                             ;   Parent Loop BB12_143 Depth=1
                                        ; =>  This Inner Loop Header: Depth=2
	global_load_ubyte v0, v1, s[18:19]
	s_waitcnt vmcnt(0)
	v_and_b32_e32 v0, 0xffff, v0
	v_lshlrev_b64 v[3:4], s16, v[0:1]
	s_add_u32 s16, s16, 8
	s_addc_u32 s17, s17, 0
	s_add_u32 s18, s18, 1
	s_addc_u32 s19, s19, 0
	v_or_b32_e32 v14, v3, v14
	s_cmp_lg_u32 s4, s16
	v_or_b32_e32 v15, v4, v15
	s_cbranch_scc1 .LBB12_146
	s_branch .LBB12_149
.LBB12_147:                             ;   in Loop: Header=BB12_143 Depth=1
	s_mov_b32 s20, 0
	s_branch .LBB12_150
.LBB12_148:                             ;   in Loop: Header=BB12_143 Depth=1
	v_mov_b32_e32 v14, 0
	v_mov_b32_e32 v15, 0
.LBB12_149:                             ;   in Loop: Header=BB12_143 Depth=1
	s_mov_b64 s[4:5], s[6:7]
	s_mov_b32 s20, 0
	s_cbranch_execnz .LBB12_151
.LBB12_150:                             ;   in Loop: Header=BB12_143 Depth=1
	global_load_dwordx2 v[14:15], v1, s[6:7]
	s_add_i32 s20, s14, -8
.LBB12_151:                             ;   in Loop: Header=BB12_143 Depth=1
	s_add_u32 s16, s4, 8
	s_addc_u32 s17, s5, 0
	s_cmp_gt_u32 s20, 7
	s_cbranch_scc1 .LBB12_155
; %bb.152:                              ;   in Loop: Header=BB12_143 Depth=1
	s_cmp_eq_u32 s20, 0
	s_cbranch_scc1 .LBB12_156
; %bb.153:                              ;   in Loop: Header=BB12_143 Depth=1
	v_mov_b32_e32 v20, 0
	s_mov_b64 s[16:17], 0
	v_mov_b32_e32 v21, 0
	s_mov_b64 s[18:19], 0
.LBB12_154:                             ;   Parent Loop BB12_143 Depth=1
                                        ; =>  This Inner Loop Header: Depth=2
	s_add_u32 s22, s4, s18
	s_addc_u32 s23, s5, s19
	global_load_ubyte v0, v1, s[22:23]
	s_add_u32 s18, s18, 1
	s_addc_u32 s19, s19, 0
	s_waitcnt vmcnt(0)
	v_and_b32_e32 v0, 0xffff, v0
	v_lshlrev_b64 v[3:4], s16, v[0:1]
	s_add_u32 s16, s16, 8
	s_addc_u32 s17, s17, 0
	v_or_b32_e32 v20, v3, v20
	s_cmp_lg_u32 s20, s18
	v_or_b32_e32 v21, v4, v21
	s_cbranch_scc1 .LBB12_154
	s_branch .LBB12_157
.LBB12_155:                             ;   in Loop: Header=BB12_143 Depth=1
                                        ; implicit-def: $vgpr20_vgpr21
	s_mov_b32 s21, 0
	s_branch .LBB12_158
.LBB12_156:                             ;   in Loop: Header=BB12_143 Depth=1
	v_mov_b32_e32 v20, 0
	v_mov_b32_e32 v21, 0
.LBB12_157:                             ;   in Loop: Header=BB12_143 Depth=1
	s_mov_b64 s[16:17], s[4:5]
	s_mov_b32 s21, 0
	s_cbranch_execnz .LBB12_159
.LBB12_158:                             ;   in Loop: Header=BB12_143 Depth=1
	global_load_dwordx2 v[20:21], v1, s[4:5]
	s_add_i32 s21, s20, -8
.LBB12_159:                             ;   in Loop: Header=BB12_143 Depth=1
	s_add_u32 s4, s16, 8
	s_addc_u32 s5, s17, 0
	s_cmp_gt_u32 s21, 7
	s_cbranch_scc1 .LBB12_163
; %bb.160:                              ;   in Loop: Header=BB12_143 Depth=1
	s_cmp_eq_u32 s21, 0
	s_cbranch_scc1 .LBB12_164
; %bb.161:                              ;   in Loop: Header=BB12_143 Depth=1
	v_mov_b32_e32 v22, 0
	s_mov_b64 s[4:5], 0
	v_mov_b32_e32 v23, 0
	s_mov_b64 s[18:19], 0
.LBB12_162:                             ;   Parent Loop BB12_143 Depth=1
                                        ; =>  This Inner Loop Header: Depth=2
	s_add_u32 s22, s16, s18
	s_addc_u32 s23, s17, s19
	global_load_ubyte v0, v1, s[22:23]
	s_add_u32 s18, s18, 1
	s_addc_u32 s19, s19, 0
	s_waitcnt vmcnt(0)
	v_and_b32_e32 v0, 0xffff, v0
	v_lshlrev_b64 v[3:4], s4, v[0:1]
	s_add_u32 s4, s4, 8
	s_addc_u32 s5, s5, 0
	v_or_b32_e32 v22, v3, v22
	s_cmp_lg_u32 s21, s18
	v_or_b32_e32 v23, v4, v23
	s_cbranch_scc1 .LBB12_162
	s_branch .LBB12_165
.LBB12_163:                             ;   in Loop: Header=BB12_143 Depth=1
	s_mov_b32 s20, 0
	s_branch .LBB12_166
.LBB12_164:                             ;   in Loop: Header=BB12_143 Depth=1
	v_mov_b32_e32 v22, 0
	v_mov_b32_e32 v23, 0
.LBB12_165:                             ;   in Loop: Header=BB12_143 Depth=1
	s_mov_b64 s[4:5], s[16:17]
	s_mov_b32 s20, 0
	s_cbranch_execnz .LBB12_167
.LBB12_166:                             ;   in Loop: Header=BB12_143 Depth=1
	global_load_dwordx2 v[22:23], v1, s[16:17]
	s_add_i32 s20, s21, -8
.LBB12_167:                             ;   in Loop: Header=BB12_143 Depth=1
	s_add_u32 s16, s4, 8
	s_addc_u32 s17, s5, 0
	s_cmp_gt_u32 s20, 7
	s_cbranch_scc1 .LBB12_171
; %bb.168:                              ;   in Loop: Header=BB12_143 Depth=1
	s_cmp_eq_u32 s20, 0
	s_cbranch_scc1 .LBB12_172
; %bb.169:                              ;   in Loop: Header=BB12_143 Depth=1
	v_mov_b32_e32 v24, 0
	s_mov_b64 s[16:17], 0
	v_mov_b32_e32 v25, 0
	s_mov_b64 s[18:19], 0
.LBB12_170:                             ;   Parent Loop BB12_143 Depth=1
                                        ; =>  This Inner Loop Header: Depth=2
	s_add_u32 s22, s4, s18
	s_addc_u32 s23, s5, s19
	global_load_ubyte v0, v1, s[22:23]
	s_add_u32 s18, s18, 1
	s_addc_u32 s19, s19, 0
	s_waitcnt vmcnt(0)
	v_and_b32_e32 v0, 0xffff, v0
	v_lshlrev_b64 v[3:4], s16, v[0:1]
	s_add_u32 s16, s16, 8
	s_addc_u32 s17, s17, 0
	v_or_b32_e32 v24, v3, v24
	s_cmp_lg_u32 s20, s18
	v_or_b32_e32 v25, v4, v25
	s_cbranch_scc1 .LBB12_170
	s_branch .LBB12_173
.LBB12_171:                             ;   in Loop: Header=BB12_143 Depth=1
                                        ; implicit-def: $vgpr24_vgpr25
	s_mov_b32 s21, 0
	s_branch .LBB12_174
.LBB12_172:                             ;   in Loop: Header=BB12_143 Depth=1
	v_mov_b32_e32 v24, 0
	v_mov_b32_e32 v25, 0
.LBB12_173:                             ;   in Loop: Header=BB12_143 Depth=1
	s_mov_b64 s[16:17], s[4:5]
	s_mov_b32 s21, 0
	s_cbranch_execnz .LBB12_175
.LBB12_174:                             ;   in Loop: Header=BB12_143 Depth=1
	global_load_dwordx2 v[24:25], v1, s[4:5]
	s_add_i32 s21, s20, -8
.LBB12_175:                             ;   in Loop: Header=BB12_143 Depth=1
	s_add_u32 s4, s16, 8
	s_addc_u32 s5, s17, 0
	s_cmp_gt_u32 s21, 7
	s_cbranch_scc1 .LBB12_179
; %bb.176:                              ;   in Loop: Header=BB12_143 Depth=1
	s_cmp_eq_u32 s21, 0
	s_cbranch_scc1 .LBB12_180
; %bb.177:                              ;   in Loop: Header=BB12_143 Depth=1
	v_mov_b32_e32 v26, 0
	s_mov_b64 s[4:5], 0
	v_mov_b32_e32 v27, 0
	s_mov_b64 s[18:19], 0
.LBB12_178:                             ;   Parent Loop BB12_143 Depth=1
                                        ; =>  This Inner Loop Header: Depth=2
	s_add_u32 s22, s16, s18
	s_addc_u32 s23, s17, s19
	global_load_ubyte v0, v1, s[22:23]
	s_add_u32 s18, s18, 1
	s_addc_u32 s19, s19, 0
	s_waitcnt vmcnt(0)
	v_and_b32_e32 v0, 0xffff, v0
	v_lshlrev_b64 v[3:4], s4, v[0:1]
	s_add_u32 s4, s4, 8
	s_addc_u32 s5, s5, 0
	v_or_b32_e32 v26, v3, v26
	s_cmp_lg_u32 s21, s18
	v_or_b32_e32 v27, v4, v27
	s_cbranch_scc1 .LBB12_178
	s_branch .LBB12_181
.LBB12_179:                             ;   in Loop: Header=BB12_143 Depth=1
	s_mov_b32 s20, 0
	s_branch .LBB12_182
.LBB12_180:                             ;   in Loop: Header=BB12_143 Depth=1
	v_mov_b32_e32 v26, 0
	v_mov_b32_e32 v27, 0
.LBB12_181:                             ;   in Loop: Header=BB12_143 Depth=1
	s_mov_b64 s[4:5], s[16:17]
	s_mov_b32 s20, 0
	s_cbranch_execnz .LBB12_183
.LBB12_182:                             ;   in Loop: Header=BB12_143 Depth=1
	global_load_dwordx2 v[26:27], v1, s[16:17]
	s_add_i32 s20, s21, -8
.LBB12_183:                             ;   in Loop: Header=BB12_143 Depth=1
	s_add_u32 s16, s4, 8
	s_addc_u32 s17, s5, 0
	s_cmp_gt_u32 s20, 7
	s_cbranch_scc1 .LBB12_187
; %bb.184:                              ;   in Loop: Header=BB12_143 Depth=1
	s_cmp_eq_u32 s20, 0
	s_cbranch_scc1 .LBB12_188
; %bb.185:                              ;   in Loop: Header=BB12_143 Depth=1
	v_mov_b32_e32 v28, 0
	s_mov_b64 s[16:17], 0
	v_mov_b32_e32 v29, 0
	s_mov_b64 s[18:19], 0
.LBB12_186:                             ;   Parent Loop BB12_143 Depth=1
                                        ; =>  This Inner Loop Header: Depth=2
	s_add_u32 s22, s4, s18
	s_addc_u32 s23, s5, s19
	global_load_ubyte v0, v1, s[22:23]
	s_add_u32 s18, s18, 1
	s_addc_u32 s19, s19, 0
	s_waitcnt vmcnt(0)
	v_and_b32_e32 v0, 0xffff, v0
	v_lshlrev_b64 v[3:4], s16, v[0:1]
	s_add_u32 s16, s16, 8
	s_addc_u32 s17, s17, 0
	v_or_b32_e32 v28, v3, v28
	s_cmp_lg_u32 s20, s18
	v_or_b32_e32 v29, v4, v29
	s_cbranch_scc1 .LBB12_186
	s_branch .LBB12_189
.LBB12_187:                             ;   in Loop: Header=BB12_143 Depth=1
                                        ; implicit-def: $vgpr28_vgpr29
	s_mov_b32 s21, 0
	s_branch .LBB12_190
.LBB12_188:                             ;   in Loop: Header=BB12_143 Depth=1
	v_mov_b32_e32 v28, 0
	v_mov_b32_e32 v29, 0
.LBB12_189:                             ;   in Loop: Header=BB12_143 Depth=1
	s_mov_b64 s[16:17], s[4:5]
	s_mov_b32 s21, 0
	s_cbranch_execnz .LBB12_191
.LBB12_190:                             ;   in Loop: Header=BB12_143 Depth=1
	global_load_dwordx2 v[28:29], v1, s[4:5]
	s_add_i32 s21, s20, -8
.LBB12_191:                             ;   in Loop: Header=BB12_143 Depth=1
	s_cmp_gt_u32 s21, 7
	s_cbranch_scc1 .LBB12_195
; %bb.192:                              ;   in Loop: Header=BB12_143 Depth=1
	s_cmp_eq_u32 s21, 0
	s_cbranch_scc1 .LBB12_196
; %bb.193:                              ;   in Loop: Header=BB12_143 Depth=1
	v_mov_b32_e32 v30, 0
	s_mov_b64 s[4:5], 0
	v_mov_b32_e32 v31, 0
	s_mov_b64 s[18:19], s[16:17]
.LBB12_194:                             ;   Parent Loop BB12_143 Depth=1
                                        ; =>  This Inner Loop Header: Depth=2
	global_load_ubyte v0, v1, s[18:19]
	s_add_i32 s21, s21, -1
	s_waitcnt vmcnt(0)
	v_and_b32_e32 v0, 0xffff, v0
	v_lshlrev_b64 v[3:4], s4, v[0:1]
	s_add_u32 s4, s4, 8
	s_addc_u32 s5, s5, 0
	s_add_u32 s18, s18, 1
	s_addc_u32 s19, s19, 0
	v_or_b32_e32 v30, v3, v30
	s_cmp_lg_u32 s21, 0
	v_or_b32_e32 v31, v4, v31
	s_cbranch_scc1 .LBB12_194
	s_branch .LBB12_197
.LBB12_195:                             ;   in Loop: Header=BB12_143 Depth=1
	s_branch .LBB12_198
.LBB12_196:                             ;   in Loop: Header=BB12_143 Depth=1
	v_mov_b32_e32 v30, 0
	v_mov_b32_e32 v31, 0
.LBB12_197:                             ;   in Loop: Header=BB12_143 Depth=1
	s_cbranch_execnz .LBB12_199
.LBB12_198:                             ;   in Loop: Header=BB12_143 Depth=1
	global_load_dwordx2 v[30:31], v1, s[16:17]
.LBB12_199:                             ;   in Loop: Header=BB12_143 Depth=1
	v_readfirstlane_b32 s4, v38
	v_mov_b32_e32 v3, 0
	v_mov_b32_e32 v4, 0
	v_cmp_eq_u32_e64 s[4:5], s4, v38
	s_and_saveexec_b64 s[16:17], s[4:5]
	s_cbranch_execz .LBB12_205
; %bb.200:                              ;   in Loop: Header=BB12_143 Depth=1
	global_load_dwordx2 v[34:35], v1, s[10:11] offset:24 glc
	s_waitcnt vmcnt(0)
	buffer_wbinvl1_vol
	global_load_dwordx2 v[3:4], v1, s[10:11] offset:40
	global_load_dwordx2 v[16:17], v1, s[10:11]
	s_waitcnt vmcnt(1)
	v_and_b32_e32 v0, v3, v34
	v_and_b32_e32 v3, v4, v35
	v_mul_lo_u32 v3, v3, 24
	v_mul_hi_u32 v4, v0, 24
	v_mul_lo_u32 v0, v0, 24
	v_add_u32_e32 v4, v4, v3
	s_waitcnt vmcnt(0)
	v_add_co_u32_e32 v3, vcc, v16, v0
	v_addc_co_u32_e32 v4, vcc, v17, v4, vcc
	global_load_dwordx2 v[32:33], v[3:4], off glc
	s_waitcnt vmcnt(0)
	global_atomic_cmpswap_x2 v[3:4], v1, v[32:35], s[10:11] offset:24 glc
	s_waitcnt vmcnt(0)
	buffer_wbinvl1_vol
	v_cmp_ne_u64_e32 vcc, v[3:4], v[34:35]
	s_and_saveexec_b64 s[18:19], vcc
	s_cbranch_execz .LBB12_204
; %bb.201:                              ;   in Loop: Header=BB12_143 Depth=1
	s_mov_b64 s[20:21], 0
.LBB12_202:                             ;   Parent Loop BB12_143 Depth=1
                                        ; =>  This Inner Loop Header: Depth=2
	s_sleep 1
	global_load_dwordx2 v[16:17], v1, s[10:11] offset:40
	global_load_dwordx2 v[32:33], v1, s[10:11]
	v_mov_b32_e32 v35, v4
	v_mov_b32_e32 v34, v3
	s_waitcnt vmcnt(1)
	v_and_b32_e32 v0, v16, v34
	s_waitcnt vmcnt(0)
	v_mad_u64_u32 v[3:4], s[22:23], v0, 24, v[32:33]
	v_and_b32_e32 v16, v17, v35
	v_mov_b32_e32 v0, v4
	v_mad_u64_u32 v[16:17], s[22:23], v16, 24, v[0:1]
	v_mov_b32_e32 v4, v16
	global_load_dwordx2 v[32:33], v[3:4], off glc
	s_waitcnt vmcnt(0)
	global_atomic_cmpswap_x2 v[3:4], v1, v[32:35], s[10:11] offset:24 glc
	s_waitcnt vmcnt(0)
	buffer_wbinvl1_vol
	v_cmp_eq_u64_e32 vcc, v[3:4], v[34:35]
	s_or_b64 s[20:21], vcc, s[20:21]
	s_andn2_b64 exec, exec, s[20:21]
	s_cbranch_execnz .LBB12_202
; %bb.203:                              ;   in Loop: Header=BB12_143 Depth=1
	s_or_b64 exec, exec, s[20:21]
.LBB12_204:                             ;   in Loop: Header=BB12_143 Depth=1
	s_or_b64 exec, exec, s[18:19]
.LBB12_205:                             ;   in Loop: Header=BB12_143 Depth=1
	s_or_b64 exec, exec, s[16:17]
	global_load_dwordx2 v[16:17], v1, s[10:11] offset:40
	global_load_dwordx4 v[32:35], v1, s[10:11]
	v_readfirstlane_b32 s17, v4
	v_readfirstlane_b32 s16, v3
	s_mov_b64 s[18:19], exec
	s_waitcnt vmcnt(1)
	v_readfirstlane_b32 s20, v16
	v_readfirstlane_b32 s21, v17
	s_and_b64 s[20:21], s[20:21], s[16:17]
	s_mul_i32 s22, s21, 24
	s_mul_hi_u32 s23, s20, 24
	s_mul_i32 s24, s20, 24
	s_add_i32 s22, s23, s22
	v_mov_b32_e32 v0, s22
	s_waitcnt vmcnt(0)
	v_add_co_u32_e32 v3, vcc, s24, v32
	v_addc_co_u32_e32 v4, vcc, v33, v0, vcc
	s_and_saveexec_b64 s[22:23], s[4:5]
	s_cbranch_execz .LBB12_207
; %bb.206:                              ;   in Loop: Header=BB12_143 Depth=1
	v_mov_b32_e32 v16, s18
	v_mov_b32_e32 v17, s19
	global_store_dwordx4 v[3:4], v[16:19], off offset:8
.LBB12_207:                             ;   in Loop: Header=BB12_143 Depth=1
	s_or_b64 exec, exec, s[22:23]
	s_lshl_b64 s[18:19], s[20:21], 12
	v_mov_b32_e32 v0, s19
	v_add_co_u32_e32 v34, vcc, s18, v34
	v_addc_co_u32_e32 v35, vcc, v35, v0, vcc
	v_cmp_lt_u64_e64 vcc, s[12:13], 57
	s_lshl_b32 s18, s14, 2
	v_cndmask_b32_e32 v0, 0, v5, vcc
	s_add_i32 s18, s18, 28
	v_and_b32_e32 v12, 0xffffff1f, v12
	s_and_b32 s18, s18, 0x1e0
	v_or_b32_e32 v0, v12, v0
	v_or_b32_e32 v12, s18, v0
	v_readfirstlane_b32 s18, v34
	v_readfirstlane_b32 s19, v35
	s_nop 4
	global_store_dwordx4 v39, v[12:15], s[18:19]
	global_store_dwordx4 v39, v[20:23], s[18:19] offset:16
	global_store_dwordx4 v39, v[24:27], s[18:19] offset:32
	;; [unrolled: 1-line block ×3, first 2 shown]
	s_and_saveexec_b64 s[18:19], s[4:5]
	s_cbranch_execz .LBB12_215
; %bb.208:                              ;   in Loop: Header=BB12_143 Depth=1
	global_load_dwordx2 v[22:23], v1, s[10:11] offset:32 glc
	global_load_dwordx2 v[12:13], v1, s[10:11] offset:40
	v_mov_b32_e32 v20, s16
	v_mov_b32_e32 v21, s17
	s_waitcnt vmcnt(0)
	v_readfirstlane_b32 s20, v12
	v_readfirstlane_b32 s21, v13
	s_and_b64 s[20:21], s[20:21], s[16:17]
	s_mul_i32 s21, s21, 24
	s_mul_hi_u32 s22, s20, 24
	s_mul_i32 s20, s20, 24
	s_add_i32 s21, s22, s21
	v_mov_b32_e32 v0, s21
	v_add_co_u32_e32 v16, vcc, s20, v32
	v_addc_co_u32_e32 v17, vcc, v33, v0, vcc
	global_store_dwordx2 v[16:17], v[22:23], off
	s_waitcnt vmcnt(0)
	global_atomic_cmpswap_x2 v[14:15], v1, v[20:23], s[10:11] offset:32 glc
	s_waitcnt vmcnt(0)
	v_cmp_ne_u64_e32 vcc, v[14:15], v[22:23]
	s_and_saveexec_b64 s[20:21], vcc
	s_cbranch_execz .LBB12_211
; %bb.209:                              ;   in Loop: Header=BB12_143 Depth=1
	s_mov_b64 s[22:23], 0
.LBB12_210:                             ;   Parent Loop BB12_143 Depth=1
                                        ; =>  This Inner Loop Header: Depth=2
	s_sleep 1
	global_store_dwordx2 v[16:17], v[14:15], off
	v_mov_b32_e32 v12, s16
	v_mov_b32_e32 v13, s17
	s_waitcnt vmcnt(0)
	global_atomic_cmpswap_x2 v[12:13], v1, v[12:15], s[10:11] offset:32 glc
	s_waitcnt vmcnt(0)
	v_cmp_eq_u64_e32 vcc, v[12:13], v[14:15]
	v_mov_b32_e32 v15, v13
	s_or_b64 s[22:23], vcc, s[22:23]
	v_mov_b32_e32 v14, v12
	s_andn2_b64 exec, exec, s[22:23]
	s_cbranch_execnz .LBB12_210
.LBB12_211:                             ;   in Loop: Header=BB12_143 Depth=1
	s_or_b64 exec, exec, s[20:21]
	global_load_dwordx2 v[12:13], v1, s[10:11] offset:16
	s_mov_b64 s[22:23], exec
	v_mbcnt_lo_u32_b32 v0, s22, 0
	v_mbcnt_hi_u32_b32 v0, s23, v0
	v_cmp_eq_u32_e32 vcc, 0, v0
	s_and_saveexec_b64 s[20:21], vcc
	s_cbranch_execz .LBB12_213
; %bb.212:                              ;   in Loop: Header=BB12_143 Depth=1
	s_bcnt1_i32_b64 s22, s[22:23]
	v_mov_b32_e32 v0, s22
	s_waitcnt vmcnt(0)
	global_atomic_add_x2 v[12:13], v[0:1], off offset:8
.LBB12_213:                             ;   in Loop: Header=BB12_143 Depth=1
	s_or_b64 exec, exec, s[20:21]
	s_waitcnt vmcnt(0)
	global_load_dwordx2 v[14:15], v[12:13], off offset:16
	s_waitcnt vmcnt(0)
	v_cmp_eq_u64_e32 vcc, 0, v[14:15]
	s_cbranch_vccnz .LBB12_215
; %bb.214:                              ;   in Loop: Header=BB12_143 Depth=1
	global_load_dword v0, v[12:13], off offset:24
	s_waitcnt vmcnt(0)
	v_readfirstlane_b32 s20, v0
	s_and_b32 m0, s20, 0xffffff
	global_store_dwordx2 v[14:15], v[0:1], off
	s_sendmsg sendmsg(MSG_INTERRUPT)
.LBB12_215:                             ;   in Loop: Header=BB12_143 Depth=1
	s_or_b64 exec, exec, s[18:19]
	v_add_co_u32_e32 v12, vcc, v34, v39
	v_addc_co_u32_e32 v13, vcc, 0, v35, vcc
	s_branch .LBB12_219
.LBB12_216:                             ;   in Loop: Header=BB12_219 Depth=2
	s_or_b64 exec, exec, s[18:19]
	v_readfirstlane_b32 s18, v0
	s_cmp_eq_u32 s18, 0
	s_cbranch_scc1 .LBB12_218
; %bb.217:                              ;   in Loop: Header=BB12_219 Depth=2
	s_sleep 1
	s_cbranch_execnz .LBB12_219
	s_branch .LBB12_221
.LBB12_218:                             ;   in Loop: Header=BB12_143 Depth=1
	s_branch .LBB12_221
.LBB12_219:                             ;   Parent Loop BB12_143 Depth=1
                                        ; =>  This Inner Loop Header: Depth=2
	v_mov_b32_e32 v0, 1
	s_and_saveexec_b64 s[18:19], s[4:5]
	s_cbranch_execz .LBB12_216
; %bb.220:                              ;   in Loop: Header=BB12_219 Depth=2
	global_load_dword v0, v[3:4], off offset:20 glc
	s_waitcnt vmcnt(0)
	buffer_wbinvl1_vol
	v_and_b32_e32 v0, 1, v0
	s_branch .LBB12_216
.LBB12_221:                             ;   in Loop: Header=BB12_143 Depth=1
	global_load_dwordx2 v[12:13], v[12:13], off
	s_and_saveexec_b64 s[18:19], s[4:5]
	s_cbranch_execz .LBB12_142
; %bb.222:                              ;   in Loop: Header=BB12_143 Depth=1
	global_load_dwordx2 v[3:4], v1, s[10:11] offset:40
	global_load_dwordx2 v[22:23], v1, s[10:11] offset:24 glc
	global_load_dwordx2 v[14:15], v1, s[10:11]
	s_waitcnt vmcnt(2)
	v_readfirstlane_b32 s20, v3
	v_readfirstlane_b32 s21, v4
	s_add_u32 s22, s20, 1
	s_addc_u32 s23, s21, 0
	s_add_u32 s4, s22, s16
	s_addc_u32 s5, s23, s17
	s_cmp_eq_u64 s[4:5], 0
	s_cselect_b32 s5, s23, s5
	s_cselect_b32 s4, s22, s4
	s_and_b64 s[16:17], s[4:5], s[20:21]
	s_mul_i32 s17, s17, 24
	s_mul_hi_u32 s20, s16, 24
	s_mul_i32 s16, s16, 24
	s_add_i32 s17, s20, s17
	v_mov_b32_e32 v0, s17
	s_waitcnt vmcnt(0)
	v_add_co_u32_e32 v3, vcc, s16, v14
	v_addc_co_u32_e32 v4, vcc, v15, v0, vcc
	v_mov_b32_e32 v20, s4
	global_store_dwordx2 v[3:4], v[22:23], off
	v_mov_b32_e32 v21, s5
	s_waitcnt vmcnt(0)
	global_atomic_cmpswap_x2 v[16:17], v1, v[20:23], s[10:11] offset:24 glc
	s_waitcnt vmcnt(0)
	v_cmp_ne_u64_e32 vcc, v[16:17], v[22:23]
	s_and_b64 exec, exec, vcc
	s_cbranch_execz .LBB12_142
; %bb.223:                              ;   in Loop: Header=BB12_143 Depth=1
	s_mov_b64 s[16:17], 0
.LBB12_224:                             ;   Parent Loop BB12_143 Depth=1
                                        ; =>  This Inner Loop Header: Depth=2
	s_sleep 1
	global_store_dwordx2 v[3:4], v[16:17], off
	v_mov_b32_e32 v14, s4
	v_mov_b32_e32 v15, s5
	s_waitcnt vmcnt(0)
	global_atomic_cmpswap_x2 v[14:15], v1, v[14:17], s[10:11] offset:24 glc
	s_waitcnt vmcnt(0)
	v_cmp_eq_u64_e32 vcc, v[14:15], v[16:17]
	v_mov_b32_e32 v17, v15
	s_or_b64 s[16:17], vcc, s[16:17]
	v_mov_b32_e32 v16, v14
	s_andn2_b64 exec, exec, s[16:17]
	s_cbranch_execnz .LBB12_224
	s_branch .LBB12_142
.LBB12_225:
                                        ; implicit-def: $vgpr12_vgpr13
	s_cbranch_execnz .LBB12_227
	s_branch .LBB12_253
.LBB12_226:
	s_branch .LBB12_253
.LBB12_227:
	v_readfirstlane_b32 s4, v38
	v_mov_b32_e32 v0, 0
	v_mov_b32_e32 v1, 0
	v_cmp_eq_u32_e64 s[4:5], s4, v38
	s_and_saveexec_b64 s[6:7], s[4:5]
	s_cbranch_execz .LBB12_233
; %bb.228:
	v_mov_b32_e32 v3, 0
	global_load_dwordx2 v[14:15], v3, s[10:11] offset:24 glc
	s_waitcnt vmcnt(0)
	buffer_wbinvl1_vol
	global_load_dwordx2 v[0:1], v3, s[10:11] offset:40
	global_load_dwordx2 v[4:5], v3, s[10:11]
	s_waitcnt vmcnt(1)
	v_and_b32_e32 v0, v0, v14
	v_and_b32_e32 v1, v1, v15
	v_mul_lo_u32 v1, v1, 24
	v_mul_hi_u32 v12, v0, 24
	v_mul_lo_u32 v0, v0, 24
	v_add_u32_e32 v1, v12, v1
	s_waitcnt vmcnt(0)
	v_add_co_u32_e32 v0, vcc, v4, v0
	v_addc_co_u32_e32 v1, vcc, v5, v1, vcc
	global_load_dwordx2 v[12:13], v[0:1], off glc
	s_waitcnt vmcnt(0)
	global_atomic_cmpswap_x2 v[0:1], v3, v[12:15], s[10:11] offset:24 glc
	s_waitcnt vmcnt(0)
	buffer_wbinvl1_vol
	v_cmp_ne_u64_e32 vcc, v[0:1], v[14:15]
	s_and_saveexec_b64 s[12:13], vcc
	s_cbranch_execz .LBB12_232
; %bb.229:
	s_mov_b64 s[14:15], 0
.LBB12_230:                             ; =>This Inner Loop Header: Depth=1
	s_sleep 1
	global_load_dwordx2 v[4:5], v3, s[10:11] offset:40
	global_load_dwordx2 v[12:13], v3, s[10:11]
	v_mov_b32_e32 v15, v1
	v_mov_b32_e32 v14, v0
	s_waitcnt vmcnt(1)
	v_and_b32_e32 v0, v4, v14
	s_waitcnt vmcnt(0)
	v_mad_u64_u32 v[0:1], s[16:17], v0, 24, v[12:13]
	v_and_b32_e32 v4, v5, v15
	v_mad_u64_u32 v[4:5], s[16:17], v4, 24, v[1:2]
	v_mov_b32_e32 v1, v4
	global_load_dwordx2 v[12:13], v[0:1], off glc
	s_waitcnt vmcnt(0)
	global_atomic_cmpswap_x2 v[0:1], v3, v[12:15], s[10:11] offset:24 glc
	s_waitcnt vmcnt(0)
	buffer_wbinvl1_vol
	v_cmp_eq_u64_e32 vcc, v[0:1], v[14:15]
	s_or_b64 s[14:15], vcc, s[14:15]
	s_andn2_b64 exec, exec, s[14:15]
	s_cbranch_execnz .LBB12_230
; %bb.231:
	s_or_b64 exec, exec, s[14:15]
.LBB12_232:
	s_or_b64 exec, exec, s[12:13]
.LBB12_233:
	s_or_b64 exec, exec, s[6:7]
	s_waitcnt vmcnt(0)
	v_mov_b32_e32 v12, 0
	global_load_dwordx2 v[3:4], v12, s[10:11] offset:40
	global_load_dwordx4 v[14:17], v12, s[10:11]
	v_readfirstlane_b32 s7, v1
	v_readfirstlane_b32 s6, v0
	s_mov_b64 s[12:13], exec
	s_waitcnt vmcnt(1)
	v_readfirstlane_b32 s14, v3
	v_readfirstlane_b32 s15, v4
	s_and_b64 s[14:15], s[14:15], s[6:7]
	s_mul_i32 s16, s15, 24
	s_mul_hi_u32 s17, s14, 24
	s_mul_i32 s18, s14, 24
	s_add_i32 s16, s17, s16
	v_mov_b32_e32 v1, s16
	s_waitcnt vmcnt(0)
	v_add_co_u32_e32 v0, vcc, s18, v14
	v_addc_co_u32_e32 v1, vcc, v15, v1, vcc
	s_and_saveexec_b64 s[16:17], s[4:5]
	s_cbranch_execz .LBB12_235
; %bb.234:
	v_mov_b32_e32 v19, s13
	v_mov_b32_e32 v18, s12
	;; [unrolled: 1-line block ×4, first 2 shown]
	global_store_dwordx4 v[0:1], v[18:21], off offset:8
.LBB12_235:
	s_or_b64 exec, exec, s[16:17]
	s_lshl_b64 s[12:13], s[14:15], 12
	v_mov_b32_e32 v3, s13
	v_add_co_u32_e32 v5, vcc, s12, v16
	v_addc_co_u32_e32 v16, vcc, v17, v3, vcc
	s_movk_i32 s12, 0xff1f
	v_and_or_b32 v10, v10, s12, 32
	s_mov_b32 s12, 0
	v_mov_b32_e32 v13, v12
	v_readfirstlane_b32 s16, v5
	v_readfirstlane_b32 s17, v16
	v_add_co_u32_e32 v3, vcc, v5, v39
	s_mov_b32 s13, s12
	s_mov_b32 s14, s12
	;; [unrolled: 1-line block ×3, first 2 shown]
	s_nop 0
	global_store_dwordx4 v39, v[10:13], s[16:17]
	v_addc_co_u32_e32 v4, vcc, 0, v16, vcc
	v_mov_b32_e32 v10, s12
	v_mov_b32_e32 v11, s13
	;; [unrolled: 1-line block ×4, first 2 shown]
	global_store_dwordx4 v39, v[10:13], s[16:17] offset:16
	global_store_dwordx4 v39, v[10:13], s[16:17] offset:32
	;; [unrolled: 1-line block ×3, first 2 shown]
	s_and_saveexec_b64 s[12:13], s[4:5]
	s_cbranch_execz .LBB12_243
; %bb.236:
	v_mov_b32_e32 v5, 0
	global_load_dwordx2 v[18:19], v5, s[10:11] offset:32 glc
	global_load_dwordx2 v[10:11], v5, s[10:11] offset:40
	v_mov_b32_e32 v16, s6
	v_mov_b32_e32 v17, s7
	s_waitcnt vmcnt(0)
	v_readfirstlane_b32 s14, v10
	v_readfirstlane_b32 s15, v11
	s_and_b64 s[14:15], s[14:15], s[6:7]
	s_mul_i32 s15, s15, 24
	s_mul_hi_u32 s16, s14, 24
	s_mul_i32 s14, s14, 24
	s_add_i32 s15, s16, s15
	v_mov_b32_e32 v10, s15
	v_add_co_u32_e32 v14, vcc, s14, v14
	v_addc_co_u32_e32 v15, vcc, v15, v10, vcc
	global_store_dwordx2 v[14:15], v[18:19], off
	s_waitcnt vmcnt(0)
	global_atomic_cmpswap_x2 v[12:13], v5, v[16:19], s[10:11] offset:32 glc
	s_waitcnt vmcnt(0)
	v_cmp_ne_u64_e32 vcc, v[12:13], v[18:19]
	s_and_saveexec_b64 s[14:15], vcc
	s_cbranch_execz .LBB12_239
; %bb.237:
	s_mov_b64 s[16:17], 0
.LBB12_238:                             ; =>This Inner Loop Header: Depth=1
	s_sleep 1
	global_store_dwordx2 v[14:15], v[12:13], off
	v_mov_b32_e32 v10, s6
	v_mov_b32_e32 v11, s7
	s_waitcnt vmcnt(0)
	global_atomic_cmpswap_x2 v[10:11], v5, v[10:13], s[10:11] offset:32 glc
	s_waitcnt vmcnt(0)
	v_cmp_eq_u64_e32 vcc, v[10:11], v[12:13]
	v_mov_b32_e32 v13, v11
	s_or_b64 s[16:17], vcc, s[16:17]
	v_mov_b32_e32 v12, v10
	s_andn2_b64 exec, exec, s[16:17]
	s_cbranch_execnz .LBB12_238
.LBB12_239:
	s_or_b64 exec, exec, s[14:15]
	v_mov_b32_e32 v13, 0
	global_load_dwordx2 v[10:11], v13, s[10:11] offset:16
	s_mov_b64 s[14:15], exec
	v_mbcnt_lo_u32_b32 v5, s14, 0
	v_mbcnt_hi_u32_b32 v5, s15, v5
	v_cmp_eq_u32_e32 vcc, 0, v5
	s_and_saveexec_b64 s[16:17], vcc
	s_cbranch_execz .LBB12_241
; %bb.240:
	s_bcnt1_i32_b64 s14, s[14:15]
	v_mov_b32_e32 v12, s14
	s_waitcnt vmcnt(0)
	global_atomic_add_x2 v[10:11], v[12:13], off offset:8
.LBB12_241:
	s_or_b64 exec, exec, s[16:17]
	s_waitcnt vmcnt(0)
	global_load_dwordx2 v[12:13], v[10:11], off offset:16
	s_waitcnt vmcnt(0)
	v_cmp_eq_u64_e32 vcc, 0, v[12:13]
	s_cbranch_vccnz .LBB12_243
; %bb.242:
	global_load_dword v10, v[10:11], off offset:24
	v_mov_b32_e32 v11, 0
	s_waitcnt vmcnt(0)
	v_readfirstlane_b32 s14, v10
	s_and_b32 m0, s14, 0xffffff
	global_store_dwordx2 v[12:13], v[10:11], off
	s_sendmsg sendmsg(MSG_INTERRUPT)
.LBB12_243:
	s_or_b64 exec, exec, s[12:13]
	s_branch .LBB12_247
.LBB12_244:                             ;   in Loop: Header=BB12_247 Depth=1
	s_or_b64 exec, exec, s[12:13]
	v_readfirstlane_b32 s12, v5
	s_cmp_eq_u32 s12, 0
	s_cbranch_scc1 .LBB12_246
; %bb.245:                              ;   in Loop: Header=BB12_247 Depth=1
	s_sleep 1
	s_cbranch_execnz .LBB12_247
	s_branch .LBB12_249
.LBB12_246:
	s_branch .LBB12_249
.LBB12_247:                             ; =>This Inner Loop Header: Depth=1
	v_mov_b32_e32 v5, 1
	s_and_saveexec_b64 s[12:13], s[4:5]
	s_cbranch_execz .LBB12_244
; %bb.248:                              ;   in Loop: Header=BB12_247 Depth=1
	global_load_dword v5, v[0:1], off offset:20 glc
	s_waitcnt vmcnt(0)
	buffer_wbinvl1_vol
	v_and_b32_e32 v5, 1, v5
	s_branch .LBB12_244
.LBB12_249:
	global_load_dwordx2 v[12:13], v[3:4], off
	s_and_saveexec_b64 s[12:13], s[4:5]
	s_cbranch_execz .LBB12_252
; %bb.250:
	v_mov_b32_e32 v3, 0
	global_load_dwordx2 v[0:1], v3, s[10:11] offset:40
	global_load_dwordx2 v[18:19], v3, s[10:11] offset:24 glc
	global_load_dwordx2 v[4:5], v3, s[10:11]
	s_waitcnt vmcnt(2)
	v_readfirstlane_b32 s14, v0
	v_readfirstlane_b32 s15, v1
	s_add_u32 s16, s14, 1
	s_addc_u32 s17, s15, 0
	s_add_u32 s4, s16, s6
	s_addc_u32 s5, s17, s7
	s_cmp_eq_u64 s[4:5], 0
	s_cselect_b32 s5, s17, s5
	s_cselect_b32 s4, s16, s4
	s_and_b64 s[6:7], s[4:5], s[14:15]
	s_mul_i32 s7, s7, 24
	s_mul_hi_u32 s14, s6, 24
	s_mul_i32 s6, s6, 24
	s_add_i32 s7, s14, s7
	v_mov_b32_e32 v1, s7
	s_waitcnt vmcnt(0)
	v_add_co_u32_e32 v0, vcc, s6, v4
	v_addc_co_u32_e32 v1, vcc, v5, v1, vcc
	v_mov_b32_e32 v16, s4
	global_store_dwordx2 v[0:1], v[18:19], off
	v_mov_b32_e32 v17, s5
	s_waitcnt vmcnt(0)
	global_atomic_cmpswap_x2 v[16:17], v3, v[16:19], s[10:11] offset:24 glc
	s_mov_b64 s[6:7], 0
	s_waitcnt vmcnt(0)
	v_cmp_ne_u64_e32 vcc, v[16:17], v[18:19]
	s_and_b64 exec, exec, vcc
	s_cbranch_execz .LBB12_252
.LBB12_251:                             ; =>This Inner Loop Header: Depth=1
	s_sleep 1
	global_store_dwordx2 v[0:1], v[16:17], off
	v_mov_b32_e32 v14, s4
	v_mov_b32_e32 v15, s5
	s_waitcnt vmcnt(0)
	global_atomic_cmpswap_x2 v[4:5], v3, v[14:17], s[10:11] offset:24 glc
	s_waitcnt vmcnt(0)
	v_cmp_eq_u64_e32 vcc, v[4:5], v[16:17]
	v_mov_b32_e32 v17, v5
	s_or_b64 s[6:7], vcc, s[6:7]
	v_mov_b32_e32 v16, v4
	s_andn2_b64 exec, exec, s[6:7]
	s_cbranch_execnz .LBB12_251
.LBB12_252:
	s_or_b64 exec, exec, s[12:13]
.LBB12_253:
	v_readfirstlane_b32 s4, v38
	v_mov_b32_e32 v0, 0
	v_mov_b32_e32 v1, 0
	v_cmp_eq_u32_e64 s[4:5], s4, v38
	s_and_saveexec_b64 s[6:7], s[4:5]
	s_cbranch_execz .LBB12_259
; %bb.254:
	v_mov_b32_e32 v3, 0
	global_load_dwordx2 v[16:17], v3, s[10:11] offset:24 glc
	s_waitcnt vmcnt(0)
	buffer_wbinvl1_vol
	global_load_dwordx2 v[0:1], v3, s[10:11] offset:40
	global_load_dwordx2 v[4:5], v3, s[10:11]
	s_waitcnt vmcnt(1)
	v_and_b32_e32 v0, v0, v16
	v_and_b32_e32 v1, v1, v17
	v_mul_lo_u32 v1, v1, 24
	v_mul_hi_u32 v10, v0, 24
	v_mul_lo_u32 v0, v0, 24
	v_add_u32_e32 v1, v10, v1
	s_waitcnt vmcnt(0)
	v_add_co_u32_e32 v0, vcc, v4, v0
	v_addc_co_u32_e32 v1, vcc, v5, v1, vcc
	global_load_dwordx2 v[14:15], v[0:1], off glc
	s_waitcnt vmcnt(0)
	global_atomic_cmpswap_x2 v[0:1], v3, v[14:17], s[10:11] offset:24 glc
	s_waitcnt vmcnt(0)
	buffer_wbinvl1_vol
	v_cmp_ne_u64_e32 vcc, v[0:1], v[16:17]
	s_and_saveexec_b64 s[12:13], vcc
	s_cbranch_execz .LBB12_258
; %bb.255:
	s_mov_b64 s[14:15], 0
.LBB12_256:                             ; =>This Inner Loop Header: Depth=1
	s_sleep 1
	global_load_dwordx2 v[4:5], v3, s[10:11] offset:40
	global_load_dwordx2 v[10:11], v3, s[10:11]
	v_mov_b32_e32 v17, v1
	v_mov_b32_e32 v16, v0
	s_waitcnt vmcnt(1)
	v_and_b32_e32 v0, v4, v16
	s_waitcnt vmcnt(0)
	v_mad_u64_u32 v[0:1], s[16:17], v0, 24, v[10:11]
	v_and_b32_e32 v4, v5, v17
	v_mad_u64_u32 v[4:5], s[16:17], v4, 24, v[1:2]
	v_mov_b32_e32 v1, v4
	global_load_dwordx2 v[14:15], v[0:1], off glc
	s_waitcnt vmcnt(0)
	global_atomic_cmpswap_x2 v[0:1], v3, v[14:17], s[10:11] offset:24 glc
	s_waitcnt vmcnt(0)
	buffer_wbinvl1_vol
	v_cmp_eq_u64_e32 vcc, v[0:1], v[16:17]
	s_or_b64 s[14:15], vcc, s[14:15]
	s_andn2_b64 exec, exec, s[14:15]
	s_cbranch_execnz .LBB12_256
; %bb.257:
	s_or_b64 exec, exec, s[14:15]
.LBB12_258:
	s_or_b64 exec, exec, s[12:13]
.LBB12_259:
	s_or_b64 exec, exec, s[6:7]
	v_mov_b32_e32 v15, 0
	global_load_dwordx2 v[3:4], v15, s[10:11] offset:40
	global_load_dwordx4 v[16:19], v15, s[10:11]
	v_readfirstlane_b32 s7, v1
	v_readfirstlane_b32 s6, v0
	s_mov_b64 s[12:13], exec
	s_waitcnt vmcnt(1)
	v_readfirstlane_b32 s14, v3
	v_readfirstlane_b32 s15, v4
	s_and_b64 s[14:15], s[14:15], s[6:7]
	s_mul_i32 s16, s15, 24
	s_mul_hi_u32 s17, s14, 24
	s_mul_i32 s18, s14, 24
	s_add_i32 s16, s17, s16
	v_mov_b32_e32 v0, s16
	s_waitcnt vmcnt(0)
	v_add_co_u32_e32 v4, vcc, s18, v16
	v_addc_co_u32_e32 v5, vcc, v17, v0, vcc
	s_and_saveexec_b64 s[16:17], s[4:5]
	s_cbranch_execz .LBB12_261
; %bb.260:
	v_mov_b32_e32 v21, s13
	v_mov_b32_e32 v20, s12
	;; [unrolled: 1-line block ×4, first 2 shown]
	global_store_dwordx4 v[4:5], v[20:23], off offset:8
.LBB12_261:
	s_or_b64 exec, exec, s[16:17]
	s_lshl_b64 s[12:13], s[14:15], 12
	v_mov_b32_e32 v0, s13
	v_add_co_u32_e32 v1, vcc, s12, v18
	v_addc_co_u32_e32 v0, vcc, v19, v0, vcc
	s_movk_i32 s12, 0xff1f
	v_and_or_b32 v12, v12, s12, 32
	v_add_co_u32_e32 v10, vcc, v1, v39
	s_mov_b32 s12, 0
	v_addc_co_u32_e32 v11, vcc, 0, v0, vcc
	v_mov_b32_e32 v14, v2
	v_readfirstlane_b32 s16, v1
	v_readfirstlane_b32 s17, v0
	s_mov_b32 s13, s12
	s_mov_b32 s14, s12
	s_mov_b32 s15, s12
	v_mov_b32_e32 v0, s12
	v_mov_b32_e32 v1, s13
	;; [unrolled: 1-line block ×4, first 2 shown]
	global_store_dwordx4 v39, v[12:15], s[16:17]
	global_store_dwordx4 v39, v[0:3], s[16:17] offset:16
	global_store_dwordx4 v39, v[0:3], s[16:17] offset:32
	;; [unrolled: 1-line block ×3, first 2 shown]
	s_and_saveexec_b64 s[12:13], s[4:5]
	s_cbranch_execz .LBB12_269
; %bb.262:
	v_mov_b32_e32 v14, 0
	global_load_dwordx2 v[20:21], v14, s[10:11] offset:32 glc
	global_load_dwordx2 v[0:1], v14, s[10:11] offset:40
	v_mov_b32_e32 v18, s6
	v_mov_b32_e32 v19, s7
	s_waitcnt vmcnt(0)
	v_readfirstlane_b32 s14, v0
	v_readfirstlane_b32 s15, v1
	s_and_b64 s[14:15], s[14:15], s[6:7]
	s_mul_i32 s15, s15, 24
	s_mul_hi_u32 s16, s14, 24
	s_mul_i32 s14, s14, 24
	s_add_i32 s15, s16, s15
	v_mov_b32_e32 v0, s15
	v_add_co_u32_e32 v12, vcc, s14, v16
	v_addc_co_u32_e32 v13, vcc, v17, v0, vcc
	global_store_dwordx2 v[12:13], v[20:21], off
	s_waitcnt vmcnt(0)
	global_atomic_cmpswap_x2 v[2:3], v14, v[18:21], s[10:11] offset:32 glc
	s_waitcnt vmcnt(0)
	v_cmp_ne_u64_e32 vcc, v[2:3], v[20:21]
	s_and_saveexec_b64 s[14:15], vcc
	s_cbranch_execz .LBB12_265
; %bb.263:
	s_mov_b64 s[16:17], 0
.LBB12_264:                             ; =>This Inner Loop Header: Depth=1
	s_sleep 1
	global_store_dwordx2 v[12:13], v[2:3], off
	v_mov_b32_e32 v0, s6
	v_mov_b32_e32 v1, s7
	s_waitcnt vmcnt(0)
	global_atomic_cmpswap_x2 v[0:1], v14, v[0:3], s[10:11] offset:32 glc
	s_waitcnt vmcnt(0)
	v_cmp_eq_u64_e32 vcc, v[0:1], v[2:3]
	v_mov_b32_e32 v3, v1
	s_or_b64 s[16:17], vcc, s[16:17]
	v_mov_b32_e32 v2, v0
	s_andn2_b64 exec, exec, s[16:17]
	s_cbranch_execnz .LBB12_264
.LBB12_265:
	s_or_b64 exec, exec, s[14:15]
	v_mov_b32_e32 v3, 0
	global_load_dwordx2 v[0:1], v3, s[10:11] offset:16
	s_mov_b64 s[14:15], exec
	v_mbcnt_lo_u32_b32 v2, s14, 0
	v_mbcnt_hi_u32_b32 v2, s15, v2
	v_cmp_eq_u32_e32 vcc, 0, v2
	s_and_saveexec_b64 s[16:17], vcc
	s_cbranch_execz .LBB12_267
; %bb.266:
	s_bcnt1_i32_b64 s14, s[14:15]
	v_mov_b32_e32 v2, s14
	s_waitcnt vmcnt(0)
	global_atomic_add_x2 v[0:1], v[2:3], off offset:8
.LBB12_267:
	s_or_b64 exec, exec, s[16:17]
	s_waitcnt vmcnt(0)
	global_load_dwordx2 v[2:3], v[0:1], off offset:16
	s_waitcnt vmcnt(0)
	v_cmp_eq_u64_e32 vcc, 0, v[2:3]
	s_cbranch_vccnz .LBB12_269
; %bb.268:
	global_load_dword v0, v[0:1], off offset:24
	v_mov_b32_e32 v1, 0
	s_waitcnt vmcnt(0)
	v_readfirstlane_b32 s14, v0
	s_and_b32 m0, s14, 0xffffff
	global_store_dwordx2 v[2:3], v[0:1], off
	s_sendmsg sendmsg(MSG_INTERRUPT)
.LBB12_269:
	s_or_b64 exec, exec, s[12:13]
	s_branch .LBB12_273
.LBB12_270:                             ;   in Loop: Header=BB12_273 Depth=1
	s_or_b64 exec, exec, s[12:13]
	v_readfirstlane_b32 s12, v0
	s_cmp_eq_u32 s12, 0
	s_cbranch_scc1 .LBB12_272
; %bb.271:                              ;   in Loop: Header=BB12_273 Depth=1
	s_sleep 1
	s_cbranch_execnz .LBB12_273
	s_branch .LBB12_275
.LBB12_272:
	s_branch .LBB12_275
.LBB12_273:                             ; =>This Inner Loop Header: Depth=1
	v_mov_b32_e32 v0, 1
	s_and_saveexec_b64 s[12:13], s[4:5]
	s_cbranch_execz .LBB12_270
; %bb.274:                              ;   in Loop: Header=BB12_273 Depth=1
	global_load_dword v0, v[4:5], off offset:20 glc
	s_waitcnt vmcnt(0)
	buffer_wbinvl1_vol
	v_and_b32_e32 v0, 1, v0
	s_branch .LBB12_270
.LBB12_275:
	global_load_dwordx2 v[0:1], v[10:11], off
	s_and_saveexec_b64 s[12:13], s[4:5]
	s_cbranch_execz .LBB12_278
; %bb.276:
	v_mov_b32_e32 v12, 0
	global_load_dwordx2 v[2:3], v12, s[10:11] offset:40
	global_load_dwordx2 v[15:16], v12, s[10:11] offset:24 glc
	global_load_dwordx2 v[4:5], v12, s[10:11]
	s_waitcnt vmcnt(2)
	v_readfirstlane_b32 s14, v2
	v_readfirstlane_b32 s15, v3
	s_add_u32 s16, s14, 1
	s_addc_u32 s17, s15, 0
	s_add_u32 s4, s16, s6
	s_addc_u32 s5, s17, s7
	s_cmp_eq_u64 s[4:5], 0
	s_cselect_b32 s5, s17, s5
	s_cselect_b32 s4, s16, s4
	s_and_b64 s[6:7], s[4:5], s[14:15]
	s_mul_i32 s7, s7, 24
	s_mul_hi_u32 s14, s6, 24
	s_mul_i32 s6, s6, 24
	s_add_i32 s7, s14, s7
	v_mov_b32_e32 v2, s7
	s_waitcnt vmcnt(0)
	v_add_co_u32_e32 v10, vcc, s6, v4
	v_addc_co_u32_e32 v11, vcc, v5, v2, vcc
	v_mov_b32_e32 v13, s4
	global_store_dwordx2 v[10:11], v[15:16], off
	v_mov_b32_e32 v14, s5
	s_waitcnt vmcnt(0)
	global_atomic_cmpswap_x2 v[4:5], v12, v[13:16], s[10:11] offset:24 glc
	s_mov_b64 s[6:7], 0
	s_waitcnt vmcnt(0)
	v_cmp_ne_u64_e32 vcc, v[4:5], v[15:16]
	s_and_b64 exec, exec, vcc
	s_cbranch_execz .LBB12_278
.LBB12_277:                             ; =>This Inner Loop Header: Depth=1
	s_sleep 1
	global_store_dwordx2 v[10:11], v[4:5], off
	v_mov_b32_e32 v2, s4
	v_mov_b32_e32 v3, s5
	s_waitcnt vmcnt(0)
	global_atomic_cmpswap_x2 v[2:3], v12, v[2:5], s[10:11] offset:24 glc
	s_waitcnt vmcnt(0)
	v_cmp_eq_u64_e32 vcc, v[2:3], v[4:5]
	v_mov_b32_e32 v5, v3
	s_or_b64 s[6:7], vcc, s[6:7]
	v_mov_b32_e32 v4, v2
	s_andn2_b64 exec, exec, s[6:7]
	s_cbranch_execnz .LBB12_277
.LBB12_278:
	s_or_b64 exec, exec, s[12:13]
	v_mov_b32_e32 v3, v6
	s_mov_b64 s[4:5], 0
	v_mov_b32_e32 v4, v7
.LBB12_279:                             ; =>This Inner Loop Header: Depth=1
	global_load_ubyte v5, v[3:4], off
	v_add_co_u32_e32 v2, vcc, 1, v3
	v_addc_co_u32_e32 v3, vcc, 0, v4, vcc
	v_mov_b32_e32 v4, v3
	v_mov_b32_e32 v3, v2
	s_waitcnt vmcnt(0)
	v_cmp_eq_u16_e32 vcc, 0, v5
	s_or_b64 s[4:5], vcc, s[4:5]
	s_andn2_b64 exec, exec, s[4:5]
	s_cbranch_execnz .LBB12_279
; %bb.280:
	s_or_b64 exec, exec, s[4:5]
	v_cmp_ne_u64_e32 vcc, 0, v[6:7]
	s_mov_b64 s[12:13], 0
	s_and_saveexec_b64 s[4:5], vcc
	s_xor_b64 s[6:7], exec, s[4:5]
	s_cbranch_execz .LBB12_366
; %bb.281:
	v_sub_u32_e32 v30, v2, v6
	v_ashrrev_i32_e32 v31, 31, v30
	v_and_b32_e32 v36, 2, v0
	v_mov_b32_e32 v33, 0
	v_and_b32_e32 v0, -3, v0
	s_mov_b32 s22, 0
	s_movk_i32 s23, 0x1e0
	v_mov_b32_e32 v12, 2
	v_mov_b32_e32 v13, 1
	s_branch .LBB12_283
.LBB12_282:                             ;   in Loop: Header=BB12_283 Depth=1
	s_or_b64 exec, exec, s[16:17]
	v_sub_co_u32_e32 v30, vcc, v30, v34
	v_subb_co_u32_e32 v31, vcc, v31, v35, vcc
	v_cmp_eq_u64_e32 vcc, 0, v[30:31]
	s_or_b64 s[12:13], vcc, s[12:13]
	v_add_co_u32_e32 v6, vcc, v6, v34
	v_addc_co_u32_e32 v7, vcc, v7, v35, vcc
	s_andn2_b64 exec, exec, s[12:13]
	s_cbranch_execz .LBB12_365
.LBB12_283:                             ; =>This Loop Header: Depth=1
                                        ;     Child Loop BB12_286 Depth 2
                                        ;     Child Loop BB12_294 Depth 2
	;; [unrolled: 1-line block ×11, first 2 shown]
	v_cmp_gt_u64_e32 vcc, 56, v[30:31]
	v_add_co_u32_e64 v10, s[4:5], 8, v6
	v_cndmask_b32_e32 v35, 0, v31, vcc
	v_cndmask_b32_e32 v34, 56, v30, vcc
	v_cmp_gt_u64_e32 vcc, 8, v[30:31]
	v_addc_co_u32_e64 v11, s[4:5], 0, v7, s[4:5]
	s_and_saveexec_b64 s[4:5], vcc
	s_xor_b64 s[4:5], exec, s[4:5]
	s_cbranch_execz .LBB12_289
; %bb.284:                              ;   in Loop: Header=BB12_283 Depth=1
	v_mov_b32_e32 v2, 0
	v_cmp_ne_u64_e32 vcc, 0, v[30:31]
	v_mov_b32_e32 v3, 0
	s_and_saveexec_b64 s[14:15], vcc
	s_cbranch_execz .LBB12_288
; %bb.285:                              ;   in Loop: Header=BB12_283 Depth=1
	v_lshlrev_b64 v[4:5], 3, v[34:35]
	v_mov_b32_e32 v2, 0
	v_mov_b32_e32 v11, v7
	s_mov_b64 s[16:17], 0
	v_mov_b32_e32 v3, 0
	v_mov_b32_e32 v10, v6
	s_mov_b64 s[18:19], 0
.LBB12_286:                             ;   Parent Loop BB12_283 Depth=1
                                        ; =>  This Inner Loop Header: Depth=2
	global_load_ubyte v5, v[10:11], off
	v_mov_b32_e32 v15, s22
	v_add_co_u32_e32 v10, vcc, 1, v10
	v_addc_co_u32_e32 v11, vcc, 0, v11, vcc
	s_waitcnt vmcnt(0)
	v_and_b32_e32 v14, 0xffff, v5
	v_lshlrev_b64 v[14:15], s18, v[14:15]
	s_add_u32 s18, s18, 8
	s_addc_u32 s19, s19, 0
	v_cmp_eq_u32_e32 vcc, s18, v4
	v_or_b32_e32 v3, v15, v3
	s_or_b64 s[16:17], vcc, s[16:17]
	v_or_b32_e32 v2, v14, v2
	s_andn2_b64 exec, exec, s[16:17]
	s_cbranch_execnz .LBB12_286
; %bb.287:                              ;   in Loop: Header=BB12_283 Depth=1
	s_or_b64 exec, exec, s[16:17]
.LBB12_288:                             ;   in Loop: Header=BB12_283 Depth=1
	s_or_b64 exec, exec, s[14:15]
	v_mov_b32_e32 v11, v7
	v_mov_b32_e32 v10, v6
.LBB12_289:                             ;   in Loop: Header=BB12_283 Depth=1
	s_or_saveexec_b64 s[4:5], s[4:5]
	v_mov_b32_e32 v16, 0
	s_xor_b64 exec, exec, s[4:5]
	s_cbranch_execz .LBB12_291
; %bb.290:                              ;   in Loop: Header=BB12_283 Depth=1
	global_load_dwordx2 v[2:3], v[6:7], off
	v_add_u32_e32 v16, -8, v34
.LBB12_291:                             ;   in Loop: Header=BB12_283 Depth=1
	s_or_b64 exec, exec, s[4:5]
	v_add_co_u32_e64 v4, s[4:5], 8, v10
	v_cmp_gt_u32_e32 vcc, 8, v16
	v_addc_co_u32_e64 v5, s[4:5], 0, v11, s[4:5]
                                        ; implicit-def: $vgpr14_vgpr15
	s_and_saveexec_b64 s[4:5], vcc
	s_xor_b64 s[4:5], exec, s[4:5]
	s_cbranch_execz .LBB12_297
; %bb.292:                              ;   in Loop: Header=BB12_283 Depth=1
	v_mov_b32_e32 v14, 0
	v_mov_b32_e32 v15, 0
	v_cmp_ne_u32_e32 vcc, 0, v16
	s_and_saveexec_b64 s[14:15], vcc
	s_cbranch_execz .LBB12_296
; %bb.293:                              ;   in Loop: Header=BB12_283 Depth=1
	v_mov_b32_e32 v14, 0
	s_mov_b64 s[16:17], 0
	v_mov_b32_e32 v15, 0
	s_mov_b64 s[18:19], 0
	s_mov_b64 s[20:21], 0
.LBB12_294:                             ;   Parent Loop BB12_283 Depth=1
                                        ; =>  This Inner Loop Header: Depth=2
	v_mov_b32_e32 v5, s21
	v_add_co_u32_e32 v4, vcc, s20, v10
	v_addc_co_u32_e32 v5, vcc, v11, v5, vcc
	global_load_ubyte v4, v[4:5], off
	s_add_u32 s20, s20, 1
	v_mov_b32_e32 v5, s22
	s_addc_u32 s21, s21, 0
	v_cmp_eq_u32_e32 vcc, s20, v16
	s_waitcnt vmcnt(0)
	v_and_b32_e32 v4, 0xffff, v4
	v_lshlrev_b64 v[4:5], s18, v[4:5]
	s_add_u32 s18, s18, 8
	s_addc_u32 s19, s19, 0
	v_or_b32_e32 v15, v5, v15
	s_or_b64 s[16:17], vcc, s[16:17]
	v_or_b32_e32 v14, v4, v14
	s_andn2_b64 exec, exec, s[16:17]
	s_cbranch_execnz .LBB12_294
; %bb.295:                              ;   in Loop: Header=BB12_283 Depth=1
	s_or_b64 exec, exec, s[16:17]
.LBB12_296:                             ;   in Loop: Header=BB12_283 Depth=1
	s_or_b64 exec, exec, s[14:15]
	v_mov_b32_e32 v4, v10
	v_mov_b32_e32 v5, v11
                                        ; implicit-def: $vgpr16
.LBB12_297:                             ;   in Loop: Header=BB12_283 Depth=1
	s_or_saveexec_b64 s[4:5], s[4:5]
	v_mov_b32_e32 v18, 0
	s_xor_b64 exec, exec, s[4:5]
	s_cbranch_execz .LBB12_299
; %bb.298:                              ;   in Loop: Header=BB12_283 Depth=1
	global_load_dwordx2 v[14:15], v[10:11], off
	v_add_u32_e32 v18, -8, v16
.LBB12_299:                             ;   in Loop: Header=BB12_283 Depth=1
	s_or_b64 exec, exec, s[4:5]
	v_add_co_u32_e64 v10, s[4:5], 8, v4
	v_cmp_gt_u32_e32 vcc, 8, v18
	v_addc_co_u32_e64 v11, s[4:5], 0, v5, s[4:5]
	s_and_saveexec_b64 s[4:5], vcc
	s_xor_b64 s[4:5], exec, s[4:5]
	s_cbranch_execz .LBB12_305
; %bb.300:                              ;   in Loop: Header=BB12_283 Depth=1
	v_mov_b32_e32 v16, 0
	v_mov_b32_e32 v17, 0
	v_cmp_ne_u32_e32 vcc, 0, v18
	s_and_saveexec_b64 s[14:15], vcc
	s_cbranch_execz .LBB12_304
; %bb.301:                              ;   in Loop: Header=BB12_283 Depth=1
	v_mov_b32_e32 v16, 0
	s_mov_b64 s[16:17], 0
	v_mov_b32_e32 v17, 0
	s_mov_b64 s[18:19], 0
	s_mov_b64 s[20:21], 0
.LBB12_302:                             ;   Parent Loop BB12_283 Depth=1
                                        ; =>  This Inner Loop Header: Depth=2
	v_mov_b32_e32 v11, s21
	v_add_co_u32_e32 v10, vcc, s20, v4
	v_addc_co_u32_e32 v11, vcc, v5, v11, vcc
	global_load_ubyte v10, v[10:11], off
	s_add_u32 s20, s20, 1
	v_mov_b32_e32 v11, s22
	s_addc_u32 s21, s21, 0
	v_cmp_eq_u32_e32 vcc, s20, v18
	s_waitcnt vmcnt(0)
	v_and_b32_e32 v10, 0xffff, v10
	v_lshlrev_b64 v[10:11], s18, v[10:11]
	s_add_u32 s18, s18, 8
	s_addc_u32 s19, s19, 0
	v_or_b32_e32 v17, v11, v17
	s_or_b64 s[16:17], vcc, s[16:17]
	v_or_b32_e32 v16, v10, v16
	s_andn2_b64 exec, exec, s[16:17]
	s_cbranch_execnz .LBB12_302
; %bb.303:                              ;   in Loop: Header=BB12_283 Depth=1
	s_or_b64 exec, exec, s[16:17]
.LBB12_304:                             ;   in Loop: Header=BB12_283 Depth=1
	s_or_b64 exec, exec, s[14:15]
	v_mov_b32_e32 v11, v5
	v_mov_b32_e32 v10, v4
                                        ; implicit-def: $vgpr18
.LBB12_305:                             ;   in Loop: Header=BB12_283 Depth=1
	s_or_saveexec_b64 s[4:5], s[4:5]
	v_mov_b32_e32 v20, 0
	s_xor_b64 exec, exec, s[4:5]
	s_cbranch_execz .LBB12_307
; %bb.306:                              ;   in Loop: Header=BB12_283 Depth=1
	global_load_dwordx2 v[16:17], v[4:5], off
	v_add_u32_e32 v20, -8, v18
.LBB12_307:                             ;   in Loop: Header=BB12_283 Depth=1
	s_or_b64 exec, exec, s[4:5]
	v_add_co_u32_e64 v4, s[4:5], 8, v10
	v_cmp_gt_u32_e32 vcc, 8, v20
	v_addc_co_u32_e64 v5, s[4:5], 0, v11, s[4:5]
                                        ; implicit-def: $vgpr18_vgpr19
	s_and_saveexec_b64 s[4:5], vcc
	s_xor_b64 s[4:5], exec, s[4:5]
	s_cbranch_execz .LBB12_313
; %bb.308:                              ;   in Loop: Header=BB12_283 Depth=1
	v_mov_b32_e32 v18, 0
	v_mov_b32_e32 v19, 0
	v_cmp_ne_u32_e32 vcc, 0, v20
	s_and_saveexec_b64 s[14:15], vcc
	s_cbranch_execz .LBB12_312
; %bb.309:                              ;   in Loop: Header=BB12_283 Depth=1
	v_mov_b32_e32 v18, 0
	s_mov_b64 s[16:17], 0
	v_mov_b32_e32 v19, 0
	s_mov_b64 s[18:19], 0
	s_mov_b64 s[20:21], 0
.LBB12_310:                             ;   Parent Loop BB12_283 Depth=1
                                        ; =>  This Inner Loop Header: Depth=2
	v_mov_b32_e32 v5, s21
	v_add_co_u32_e32 v4, vcc, s20, v10
	v_addc_co_u32_e32 v5, vcc, v11, v5, vcc
	global_load_ubyte v4, v[4:5], off
	s_add_u32 s20, s20, 1
	v_mov_b32_e32 v5, s22
	s_addc_u32 s21, s21, 0
	v_cmp_eq_u32_e32 vcc, s20, v20
	s_waitcnt vmcnt(0)
	v_and_b32_e32 v4, 0xffff, v4
	v_lshlrev_b64 v[4:5], s18, v[4:5]
	s_add_u32 s18, s18, 8
	s_addc_u32 s19, s19, 0
	v_or_b32_e32 v19, v5, v19
	s_or_b64 s[16:17], vcc, s[16:17]
	v_or_b32_e32 v18, v4, v18
	s_andn2_b64 exec, exec, s[16:17]
	s_cbranch_execnz .LBB12_310
; %bb.311:                              ;   in Loop: Header=BB12_283 Depth=1
	s_or_b64 exec, exec, s[16:17]
.LBB12_312:                             ;   in Loop: Header=BB12_283 Depth=1
	s_or_b64 exec, exec, s[14:15]
	v_mov_b32_e32 v4, v10
	v_mov_b32_e32 v5, v11
                                        ; implicit-def: $vgpr20
.LBB12_313:                             ;   in Loop: Header=BB12_283 Depth=1
	s_or_saveexec_b64 s[4:5], s[4:5]
	v_mov_b32_e32 v22, 0
	s_xor_b64 exec, exec, s[4:5]
	s_cbranch_execz .LBB12_315
; %bb.314:                              ;   in Loop: Header=BB12_283 Depth=1
	global_load_dwordx2 v[18:19], v[10:11], off
	v_add_u32_e32 v22, -8, v20
.LBB12_315:                             ;   in Loop: Header=BB12_283 Depth=1
	s_or_b64 exec, exec, s[4:5]
	v_add_co_u32_e64 v10, s[4:5], 8, v4
	v_cmp_gt_u32_e32 vcc, 8, v22
	v_addc_co_u32_e64 v11, s[4:5], 0, v5, s[4:5]
	s_and_saveexec_b64 s[4:5], vcc
	s_xor_b64 s[4:5], exec, s[4:5]
	s_cbranch_execz .LBB12_321
; %bb.316:                              ;   in Loop: Header=BB12_283 Depth=1
	v_mov_b32_e32 v20, 0
	v_mov_b32_e32 v21, 0
	v_cmp_ne_u32_e32 vcc, 0, v22
	s_and_saveexec_b64 s[14:15], vcc
	s_cbranch_execz .LBB12_320
; %bb.317:                              ;   in Loop: Header=BB12_283 Depth=1
	v_mov_b32_e32 v20, 0
	s_mov_b64 s[16:17], 0
	v_mov_b32_e32 v21, 0
	s_mov_b64 s[18:19], 0
	s_mov_b64 s[20:21], 0
.LBB12_318:                             ;   Parent Loop BB12_283 Depth=1
                                        ; =>  This Inner Loop Header: Depth=2
	v_mov_b32_e32 v11, s21
	v_add_co_u32_e32 v10, vcc, s20, v4
	v_addc_co_u32_e32 v11, vcc, v5, v11, vcc
	global_load_ubyte v10, v[10:11], off
	s_add_u32 s20, s20, 1
	v_mov_b32_e32 v11, s22
	s_addc_u32 s21, s21, 0
	v_cmp_eq_u32_e32 vcc, s20, v22
	s_waitcnt vmcnt(0)
	v_and_b32_e32 v10, 0xffff, v10
	v_lshlrev_b64 v[10:11], s18, v[10:11]
	s_add_u32 s18, s18, 8
	s_addc_u32 s19, s19, 0
	v_or_b32_e32 v21, v11, v21
	s_or_b64 s[16:17], vcc, s[16:17]
	v_or_b32_e32 v20, v10, v20
	s_andn2_b64 exec, exec, s[16:17]
	s_cbranch_execnz .LBB12_318
; %bb.319:                              ;   in Loop: Header=BB12_283 Depth=1
	s_or_b64 exec, exec, s[16:17]
.LBB12_320:                             ;   in Loop: Header=BB12_283 Depth=1
	s_or_b64 exec, exec, s[14:15]
	v_mov_b32_e32 v11, v5
	v_mov_b32_e32 v10, v4
                                        ; implicit-def: $vgpr22
.LBB12_321:                             ;   in Loop: Header=BB12_283 Depth=1
	s_or_saveexec_b64 s[4:5], s[4:5]
	v_mov_b32_e32 v24, 0
	s_xor_b64 exec, exec, s[4:5]
	s_cbranch_execz .LBB12_323
; %bb.322:                              ;   in Loop: Header=BB12_283 Depth=1
	global_load_dwordx2 v[20:21], v[4:5], off
	v_add_u32_e32 v24, -8, v22
.LBB12_323:                             ;   in Loop: Header=BB12_283 Depth=1
	s_or_b64 exec, exec, s[4:5]
	v_add_co_u32_e64 v4, s[4:5], 8, v10
	v_cmp_gt_u32_e32 vcc, 8, v24
	v_addc_co_u32_e64 v5, s[4:5], 0, v11, s[4:5]
                                        ; implicit-def: $vgpr22_vgpr23
	s_and_saveexec_b64 s[4:5], vcc
	s_xor_b64 s[4:5], exec, s[4:5]
	s_cbranch_execz .LBB12_329
; %bb.324:                              ;   in Loop: Header=BB12_283 Depth=1
	v_mov_b32_e32 v22, 0
	v_mov_b32_e32 v23, 0
	v_cmp_ne_u32_e32 vcc, 0, v24
	s_and_saveexec_b64 s[14:15], vcc
	s_cbranch_execz .LBB12_328
; %bb.325:                              ;   in Loop: Header=BB12_283 Depth=1
	v_mov_b32_e32 v22, 0
	s_mov_b64 s[16:17], 0
	v_mov_b32_e32 v23, 0
	s_mov_b64 s[18:19], 0
	s_mov_b64 s[20:21], 0
.LBB12_326:                             ;   Parent Loop BB12_283 Depth=1
                                        ; =>  This Inner Loop Header: Depth=2
	v_mov_b32_e32 v5, s21
	v_add_co_u32_e32 v4, vcc, s20, v10
	v_addc_co_u32_e32 v5, vcc, v11, v5, vcc
	global_load_ubyte v4, v[4:5], off
	s_add_u32 s20, s20, 1
	v_mov_b32_e32 v5, s22
	s_addc_u32 s21, s21, 0
	v_cmp_eq_u32_e32 vcc, s20, v24
	s_waitcnt vmcnt(0)
	v_and_b32_e32 v4, 0xffff, v4
	v_lshlrev_b64 v[4:5], s18, v[4:5]
	s_add_u32 s18, s18, 8
	s_addc_u32 s19, s19, 0
	v_or_b32_e32 v23, v5, v23
	s_or_b64 s[16:17], vcc, s[16:17]
	v_or_b32_e32 v22, v4, v22
	s_andn2_b64 exec, exec, s[16:17]
	s_cbranch_execnz .LBB12_326
; %bb.327:                              ;   in Loop: Header=BB12_283 Depth=1
	s_or_b64 exec, exec, s[16:17]
.LBB12_328:                             ;   in Loop: Header=BB12_283 Depth=1
	s_or_b64 exec, exec, s[14:15]
	v_mov_b32_e32 v4, v10
	v_mov_b32_e32 v5, v11
                                        ; implicit-def: $vgpr24
.LBB12_329:                             ;   in Loop: Header=BB12_283 Depth=1
	s_or_saveexec_b64 s[4:5], s[4:5]
	v_mov_b32_e32 v26, 0
	s_xor_b64 exec, exec, s[4:5]
	s_cbranch_execz .LBB12_331
; %bb.330:                              ;   in Loop: Header=BB12_283 Depth=1
	global_load_dwordx2 v[22:23], v[10:11], off
	v_add_u32_e32 v26, -8, v24
.LBB12_331:                             ;   in Loop: Header=BB12_283 Depth=1
	s_or_b64 exec, exec, s[4:5]
	v_cmp_gt_u32_e32 vcc, 8, v26
	s_and_saveexec_b64 s[4:5], vcc
	s_xor_b64 s[4:5], exec, s[4:5]
	s_cbranch_execz .LBB12_337
; %bb.332:                              ;   in Loop: Header=BB12_283 Depth=1
	v_mov_b32_e32 v24, 0
	v_mov_b32_e32 v25, 0
	v_cmp_ne_u32_e32 vcc, 0, v26
	s_and_saveexec_b64 s[14:15], vcc
	s_cbranch_execz .LBB12_336
; %bb.333:                              ;   in Loop: Header=BB12_283 Depth=1
	v_mov_b32_e32 v24, 0
	s_mov_b64 s[16:17], 0
	v_mov_b32_e32 v25, 0
	s_mov_b64 s[18:19], 0
.LBB12_334:                             ;   Parent Loop BB12_283 Depth=1
                                        ; =>  This Inner Loop Header: Depth=2
	global_load_ubyte v10, v[4:5], off
	v_mov_b32_e32 v11, s22
	v_add_co_u32_e32 v4, vcc, 1, v4
	v_add_u32_e32 v26, -1, v26
	v_addc_co_u32_e32 v5, vcc, 0, v5, vcc
	v_cmp_eq_u32_e32 vcc, 0, v26
	s_waitcnt vmcnt(0)
	v_and_b32_e32 v10, 0xffff, v10
	v_lshlrev_b64 v[10:11], s18, v[10:11]
	s_add_u32 s18, s18, 8
	s_addc_u32 s19, s19, 0
	v_or_b32_e32 v25, v11, v25
	s_or_b64 s[16:17], vcc, s[16:17]
	v_or_b32_e32 v24, v10, v24
	s_andn2_b64 exec, exec, s[16:17]
	s_cbranch_execnz .LBB12_334
; %bb.335:                              ;   in Loop: Header=BB12_283 Depth=1
	s_or_b64 exec, exec, s[16:17]
.LBB12_336:                             ;   in Loop: Header=BB12_283 Depth=1
	s_or_b64 exec, exec, s[14:15]
                                        ; implicit-def: $vgpr4_vgpr5
.LBB12_337:                             ;   in Loop: Header=BB12_283 Depth=1
	s_andn2_saveexec_b64 s[4:5], s[4:5]
	s_cbranch_execz .LBB12_339
; %bb.338:                              ;   in Loop: Header=BB12_283 Depth=1
	global_load_dwordx2 v[24:25], v[4:5], off
.LBB12_339:                             ;   in Loop: Header=BB12_283 Depth=1
	s_or_b64 exec, exec, s[4:5]
	v_readfirstlane_b32 s4, v38
	v_mov_b32_e32 v4, 0
	v_mov_b32_e32 v5, 0
	v_cmp_eq_u32_e64 s[4:5], s4, v38
	s_and_saveexec_b64 s[14:15], s[4:5]
	s_cbranch_execz .LBB12_345
; %bb.340:                              ;   in Loop: Header=BB12_283 Depth=1
	global_load_dwordx2 v[28:29], v33, s[10:11] offset:24 glc
	s_waitcnt vmcnt(0)
	buffer_wbinvl1_vol
	global_load_dwordx2 v[4:5], v33, s[10:11] offset:40
	global_load_dwordx2 v[10:11], v33, s[10:11]
	s_waitcnt vmcnt(1)
	v_and_b32_e32 v4, v4, v28
	v_and_b32_e32 v5, v5, v29
	v_mul_lo_u32 v5, v5, 24
	v_mul_hi_u32 v26, v4, 24
	v_mul_lo_u32 v4, v4, 24
	v_add_u32_e32 v5, v26, v5
	s_waitcnt vmcnt(0)
	v_add_co_u32_e32 v4, vcc, v10, v4
	v_addc_co_u32_e32 v5, vcc, v11, v5, vcc
	global_load_dwordx2 v[26:27], v[4:5], off glc
	s_waitcnt vmcnt(0)
	global_atomic_cmpswap_x2 v[4:5], v33, v[26:29], s[10:11] offset:24 glc
	s_waitcnt vmcnt(0)
	buffer_wbinvl1_vol
	v_cmp_ne_u64_e32 vcc, v[4:5], v[28:29]
	s_and_saveexec_b64 s[16:17], vcc
	s_cbranch_execz .LBB12_344
; %bb.341:                              ;   in Loop: Header=BB12_283 Depth=1
	s_mov_b64 s[18:19], 0
.LBB12_342:                             ;   Parent Loop BB12_283 Depth=1
                                        ; =>  This Inner Loop Header: Depth=2
	s_sleep 1
	global_load_dwordx2 v[10:11], v33, s[10:11] offset:40
	global_load_dwordx2 v[26:27], v33, s[10:11]
	v_mov_b32_e32 v29, v5
	v_mov_b32_e32 v28, v4
	s_waitcnt vmcnt(1)
	v_and_b32_e32 v4, v10, v28
	s_waitcnt vmcnt(0)
	v_mad_u64_u32 v[4:5], s[20:21], v4, 24, v[26:27]
	v_and_b32_e32 v10, v11, v29
	v_mad_u64_u32 v[10:11], s[20:21], v10, 24, v[5:6]
	v_mov_b32_e32 v5, v10
	global_load_dwordx2 v[26:27], v[4:5], off glc
	s_waitcnt vmcnt(0)
	global_atomic_cmpswap_x2 v[4:5], v33, v[26:29], s[10:11] offset:24 glc
	s_waitcnt vmcnt(0)
	buffer_wbinvl1_vol
	v_cmp_eq_u64_e32 vcc, v[4:5], v[28:29]
	s_or_b64 s[18:19], vcc, s[18:19]
	s_andn2_b64 exec, exec, s[18:19]
	s_cbranch_execnz .LBB12_342
; %bb.343:                              ;   in Loop: Header=BB12_283 Depth=1
	s_or_b64 exec, exec, s[18:19]
.LBB12_344:                             ;   in Loop: Header=BB12_283 Depth=1
	s_or_b64 exec, exec, s[16:17]
.LBB12_345:                             ;   in Loop: Header=BB12_283 Depth=1
	s_or_b64 exec, exec, s[14:15]
	global_load_dwordx2 v[10:11], v33, s[10:11] offset:40
	global_load_dwordx4 v[26:29], v33, s[10:11]
	v_readfirstlane_b32 s15, v5
	v_readfirstlane_b32 s14, v4
	s_mov_b64 s[16:17], exec
	s_waitcnt vmcnt(1)
	v_readfirstlane_b32 s18, v10
	v_readfirstlane_b32 s19, v11
	s_and_b64 s[18:19], s[18:19], s[14:15]
	s_mul_i32 s20, s19, 24
	s_mul_hi_u32 s21, s18, 24
	s_mul_i32 s24, s18, 24
	s_add_i32 s20, s21, s20
	v_mov_b32_e32 v5, s20
	s_waitcnt vmcnt(0)
	v_add_co_u32_e32 v4, vcc, s24, v26
	v_addc_co_u32_e32 v5, vcc, v27, v5, vcc
	s_and_saveexec_b64 s[20:21], s[4:5]
	s_cbranch_execz .LBB12_347
; %bb.346:                              ;   in Loop: Header=BB12_283 Depth=1
	v_mov_b32_e32 v10, s16
	v_mov_b32_e32 v11, s17
	global_store_dwordx4 v[4:5], v[10:13], off offset:8
.LBB12_347:                             ;   in Loop: Header=BB12_283 Depth=1
	s_or_b64 exec, exec, s[20:21]
	s_lshl_b64 s[16:17], s[18:19], 12
	v_mov_b32_e32 v10, s17
	v_add_co_u32_e32 v28, vcc, s16, v28
	v_addc_co_u32_e32 v29, vcc, v29, v10, vcc
	v_cmp_gt_u64_e32 vcc, 57, v[30:31]
	v_and_b32_e32 v0, 0xffffff1f, v0
	v_cndmask_b32_e32 v10, 0, v36, vcc
	v_lshl_add_u32 v11, v34, 2, 28
	v_or_b32_e32 v0, v0, v10
	v_and_or_b32 v0, v11, s23, v0
	v_readfirstlane_b32 s16, v28
	v_readfirstlane_b32 s17, v29
	s_nop 4
	global_store_dwordx4 v39, v[0:3], s[16:17]
	global_store_dwordx4 v39, v[14:17], s[16:17] offset:16
	global_store_dwordx4 v39, v[18:21], s[16:17] offset:32
	global_store_dwordx4 v39, v[22:25], s[16:17] offset:48
	s_and_saveexec_b64 s[16:17], s[4:5]
	s_cbranch_execz .LBB12_355
; %bb.348:                              ;   in Loop: Header=BB12_283 Depth=1
	global_load_dwordx2 v[16:17], v33, s[10:11] offset:32 glc
	global_load_dwordx2 v[0:1], v33, s[10:11] offset:40
	v_mov_b32_e32 v14, s14
	v_mov_b32_e32 v15, s15
	s_waitcnt vmcnt(0)
	v_readfirstlane_b32 s18, v0
	v_readfirstlane_b32 s19, v1
	s_and_b64 s[18:19], s[18:19], s[14:15]
	s_mul_i32 s19, s19, 24
	s_mul_hi_u32 s20, s18, 24
	s_mul_i32 s18, s18, 24
	s_add_i32 s19, s20, s19
	v_mov_b32_e32 v0, s19
	v_add_co_u32_e32 v10, vcc, s18, v26
	v_addc_co_u32_e32 v11, vcc, v27, v0, vcc
	global_store_dwordx2 v[10:11], v[16:17], off
	s_waitcnt vmcnt(0)
	global_atomic_cmpswap_x2 v[2:3], v33, v[14:17], s[10:11] offset:32 glc
	s_waitcnt vmcnt(0)
	v_cmp_ne_u64_e32 vcc, v[2:3], v[16:17]
	s_and_saveexec_b64 s[18:19], vcc
	s_cbranch_execz .LBB12_351
; %bb.349:                              ;   in Loop: Header=BB12_283 Depth=1
	s_mov_b64 s[20:21], 0
.LBB12_350:                             ;   Parent Loop BB12_283 Depth=1
                                        ; =>  This Inner Loop Header: Depth=2
	s_sleep 1
	global_store_dwordx2 v[10:11], v[2:3], off
	v_mov_b32_e32 v0, s14
	v_mov_b32_e32 v1, s15
	s_waitcnt vmcnt(0)
	global_atomic_cmpswap_x2 v[0:1], v33, v[0:3], s[10:11] offset:32 glc
	s_waitcnt vmcnt(0)
	v_cmp_eq_u64_e32 vcc, v[0:1], v[2:3]
	v_mov_b32_e32 v3, v1
	s_or_b64 s[20:21], vcc, s[20:21]
	v_mov_b32_e32 v2, v0
	s_andn2_b64 exec, exec, s[20:21]
	s_cbranch_execnz .LBB12_350
.LBB12_351:                             ;   in Loop: Header=BB12_283 Depth=1
	s_or_b64 exec, exec, s[18:19]
	global_load_dwordx2 v[0:1], v33, s[10:11] offset:16
	s_mov_b64 s[20:21], exec
	v_mbcnt_lo_u32_b32 v2, s20, 0
	v_mbcnt_hi_u32_b32 v2, s21, v2
	v_cmp_eq_u32_e32 vcc, 0, v2
	s_and_saveexec_b64 s[18:19], vcc
	s_cbranch_execz .LBB12_353
; %bb.352:                              ;   in Loop: Header=BB12_283 Depth=1
	s_bcnt1_i32_b64 s20, s[20:21]
	v_mov_b32_e32 v32, s20
	s_waitcnt vmcnt(0)
	global_atomic_add_x2 v[0:1], v[32:33], off offset:8
.LBB12_353:                             ;   in Loop: Header=BB12_283 Depth=1
	s_or_b64 exec, exec, s[18:19]
	s_waitcnt vmcnt(0)
	global_load_dwordx2 v[2:3], v[0:1], off offset:16
	s_waitcnt vmcnt(0)
	v_cmp_eq_u64_e32 vcc, 0, v[2:3]
	s_cbranch_vccnz .LBB12_355
; %bb.354:                              ;   in Loop: Header=BB12_283 Depth=1
	global_load_dword v32, v[0:1], off offset:24
	s_waitcnt vmcnt(0)
	v_readfirstlane_b32 s18, v32
	s_and_b32 m0, s18, 0xffffff
	global_store_dwordx2 v[2:3], v[32:33], off
	s_sendmsg sendmsg(MSG_INTERRUPT)
.LBB12_355:                             ;   in Loop: Header=BB12_283 Depth=1
	s_or_b64 exec, exec, s[16:17]
	v_add_co_u32_e32 v0, vcc, v28, v39
	v_addc_co_u32_e32 v1, vcc, 0, v29, vcc
	s_branch .LBB12_359
.LBB12_356:                             ;   in Loop: Header=BB12_359 Depth=2
	s_or_b64 exec, exec, s[16:17]
	v_readfirstlane_b32 s16, v2
	s_cmp_eq_u32 s16, 0
	s_cbranch_scc1 .LBB12_358
; %bb.357:                              ;   in Loop: Header=BB12_359 Depth=2
	s_sleep 1
	s_cbranch_execnz .LBB12_359
	s_branch .LBB12_361
.LBB12_358:                             ;   in Loop: Header=BB12_283 Depth=1
	s_branch .LBB12_361
.LBB12_359:                             ;   Parent Loop BB12_283 Depth=1
                                        ; =>  This Inner Loop Header: Depth=2
	v_mov_b32_e32 v2, 1
	s_and_saveexec_b64 s[16:17], s[4:5]
	s_cbranch_execz .LBB12_356
; %bb.360:                              ;   in Loop: Header=BB12_359 Depth=2
	global_load_dword v2, v[4:5], off offset:20 glc
	s_waitcnt vmcnt(0)
	buffer_wbinvl1_vol
	v_and_b32_e32 v2, 1, v2
	s_branch .LBB12_356
.LBB12_361:                             ;   in Loop: Header=BB12_283 Depth=1
	global_load_dwordx2 v[0:1], v[0:1], off
	s_and_saveexec_b64 s[16:17], s[4:5]
	s_cbranch_execz .LBB12_282
; %bb.362:                              ;   in Loop: Header=BB12_283 Depth=1
	global_load_dwordx2 v[2:3], v33, s[10:11] offset:40
	global_load_dwordx2 v[16:17], v33, s[10:11] offset:24 glc
	global_load_dwordx2 v[4:5], v33, s[10:11]
	s_waitcnt vmcnt(2)
	v_readfirstlane_b32 s18, v2
	v_readfirstlane_b32 s19, v3
	s_add_u32 s20, s18, 1
	s_addc_u32 s21, s19, 0
	s_add_u32 s4, s20, s14
	s_addc_u32 s5, s21, s15
	s_cmp_eq_u64 s[4:5], 0
	s_cselect_b32 s5, s21, s5
	s_cselect_b32 s4, s20, s4
	s_and_b64 s[14:15], s[4:5], s[18:19]
	s_mul_i32 s15, s15, 24
	s_mul_hi_u32 s18, s14, 24
	s_mul_i32 s14, s14, 24
	s_add_i32 s15, s18, s15
	v_mov_b32_e32 v2, s15
	s_waitcnt vmcnt(0)
	v_add_co_u32_e32 v10, vcc, s14, v4
	v_addc_co_u32_e32 v11, vcc, v5, v2, vcc
	v_mov_b32_e32 v14, s4
	global_store_dwordx2 v[10:11], v[16:17], off
	v_mov_b32_e32 v15, s5
	s_waitcnt vmcnt(0)
	global_atomic_cmpswap_x2 v[4:5], v33, v[14:17], s[10:11] offset:24 glc
	s_waitcnt vmcnt(0)
	v_cmp_ne_u64_e32 vcc, v[4:5], v[16:17]
	s_and_b64 exec, exec, vcc
	s_cbranch_execz .LBB12_282
; %bb.363:                              ;   in Loop: Header=BB12_283 Depth=1
	s_mov_b64 s[14:15], 0
.LBB12_364:                             ;   Parent Loop BB12_283 Depth=1
                                        ; =>  This Inner Loop Header: Depth=2
	s_sleep 1
	global_store_dwordx2 v[10:11], v[4:5], off
	v_mov_b32_e32 v2, s4
	v_mov_b32_e32 v3, s5
	s_waitcnt vmcnt(0)
	global_atomic_cmpswap_x2 v[2:3], v33, v[2:5], s[10:11] offset:24 glc
	s_waitcnt vmcnt(0)
	v_cmp_eq_u64_e32 vcc, v[2:3], v[4:5]
	v_mov_b32_e32 v5, v3
	s_or_b64 s[14:15], vcc, s[14:15]
	v_mov_b32_e32 v4, v2
	s_andn2_b64 exec, exec, s[14:15]
	s_cbranch_execnz .LBB12_364
	s_branch .LBB12_282
.LBB12_365:
	s_or_b64 exec, exec, s[12:13]
                                        ; implicit-def: $vgpr39
                                        ; implicit-def: $vgpr38
.LBB12_366:
	s_andn2_saveexec_b64 s[6:7], s[6:7]
	s_cbranch_execz .LBB12_393
; %bb.367:
	v_readfirstlane_b32 s4, v38
	v_mov_b32_e32 v10, 0
	v_mov_b32_e32 v11, 0
	v_cmp_eq_u32_e64 s[4:5], s4, v38
	s_and_saveexec_b64 s[12:13], s[4:5]
	s_cbranch_execz .LBB12_373
; %bb.368:
	v_mov_b32_e32 v2, 0
	global_load_dwordx2 v[5:6], v2, s[10:11] offset:24 glc
	s_waitcnt vmcnt(0)
	buffer_wbinvl1_vol
	global_load_dwordx2 v[3:4], v2, s[10:11] offset:40
	global_load_dwordx2 v[10:11], v2, s[10:11]
	s_waitcnt vmcnt(1)
	v_and_b32_e32 v3, v3, v5
	v_and_b32_e32 v4, v4, v6
	v_mul_lo_u32 v4, v4, 24
	v_mul_hi_u32 v7, v3, 24
	v_mul_lo_u32 v3, v3, 24
	v_add_u32_e32 v4, v7, v4
	s_waitcnt vmcnt(0)
	v_add_co_u32_e32 v3, vcc, v10, v3
	v_addc_co_u32_e32 v4, vcc, v11, v4, vcc
	global_load_dwordx2 v[3:4], v[3:4], off glc
	s_waitcnt vmcnt(0)
	global_atomic_cmpswap_x2 v[10:11], v2, v[3:6], s[10:11] offset:24 glc
	s_waitcnt vmcnt(0)
	buffer_wbinvl1_vol
	v_cmp_ne_u64_e32 vcc, v[10:11], v[5:6]
	s_and_saveexec_b64 s[14:15], vcc
	s_cbranch_execz .LBB12_372
; %bb.369:
	s_mov_b64 s[16:17], 0
.LBB12_370:                             ; =>This Inner Loop Header: Depth=1
	s_sleep 1
	global_load_dwordx2 v[3:4], v2, s[10:11] offset:40
	global_load_dwordx2 v[12:13], v2, s[10:11]
	v_mov_b32_e32 v5, v10
	v_mov_b32_e32 v6, v11
	s_waitcnt vmcnt(1)
	v_and_b32_e32 v3, v3, v5
	s_waitcnt vmcnt(0)
	v_mad_u64_u32 v[10:11], s[18:19], v3, 24, v[12:13]
	v_and_b32_e32 v4, v4, v6
	v_mov_b32_e32 v3, v11
	v_mad_u64_u32 v[3:4], s[18:19], v4, 24, v[3:4]
	v_mov_b32_e32 v11, v3
	global_load_dwordx2 v[3:4], v[10:11], off glc
	s_waitcnt vmcnt(0)
	global_atomic_cmpswap_x2 v[10:11], v2, v[3:6], s[10:11] offset:24 glc
	s_waitcnt vmcnt(0)
	buffer_wbinvl1_vol
	v_cmp_eq_u64_e32 vcc, v[10:11], v[5:6]
	s_or_b64 s[16:17], vcc, s[16:17]
	s_andn2_b64 exec, exec, s[16:17]
	s_cbranch_execnz .LBB12_370
; %bb.371:
	s_or_b64 exec, exec, s[16:17]
.LBB12_372:
	s_or_b64 exec, exec, s[14:15]
.LBB12_373:
	s_or_b64 exec, exec, s[12:13]
	v_mov_b32_e32 v2, 0
	global_load_dwordx2 v[12:13], v2, s[10:11] offset:40
	global_load_dwordx4 v[4:7], v2, s[10:11]
	v_readfirstlane_b32 s13, v11
	v_readfirstlane_b32 s12, v10
	s_mov_b64 s[14:15], exec
	s_waitcnt vmcnt(1)
	v_readfirstlane_b32 s16, v12
	v_readfirstlane_b32 s17, v13
	s_and_b64 s[16:17], s[16:17], s[12:13]
	s_mul_i32 s18, s17, 24
	s_mul_hi_u32 s19, s16, 24
	s_mul_i32 s20, s16, 24
	s_add_i32 s18, s19, s18
	v_mov_b32_e32 v3, s18
	s_waitcnt vmcnt(0)
	v_add_co_u32_e32 v10, vcc, s20, v4
	v_addc_co_u32_e32 v11, vcc, v5, v3, vcc
	s_and_saveexec_b64 s[18:19], s[4:5]
	s_cbranch_execz .LBB12_375
; %bb.374:
	v_mov_b32_e32 v12, s14
	v_mov_b32_e32 v13, s15
	;; [unrolled: 1-line block ×4, first 2 shown]
	global_store_dwordx4 v[10:11], v[12:15], off offset:8
.LBB12_375:
	s_or_b64 exec, exec, s[18:19]
	s_lshl_b64 s[14:15], s[16:17], 12
	v_mov_b32_e32 v3, s15
	v_add_co_u32_e32 v12, vcc, s14, v6
	v_addc_co_u32_e32 v13, vcc, v7, v3, vcc
	s_movk_i32 s14, 0xff1f
	v_and_or_b32 v0, v0, s14, 32
	s_mov_b32 s16, 0
	v_mov_b32_e32 v3, v2
	v_readfirstlane_b32 s14, v12
	v_readfirstlane_b32 s15, v13
	v_add_co_u32_e32 v6, vcc, v12, v39
	s_mov_b32 s17, s16
	s_mov_b32 s18, s16
	;; [unrolled: 1-line block ×3, first 2 shown]
	s_nop 0
	global_store_dwordx4 v39, v[0:3], s[14:15]
	v_addc_co_u32_e32 v7, vcc, 0, v13, vcc
	v_mov_b32_e32 v0, s16
	v_mov_b32_e32 v1, s17
	;; [unrolled: 1-line block ×4, first 2 shown]
	global_store_dwordx4 v39, v[0:3], s[14:15] offset:16
	global_store_dwordx4 v39, v[0:3], s[14:15] offset:32
	;; [unrolled: 1-line block ×3, first 2 shown]
	s_and_saveexec_b64 s[14:15], s[4:5]
	s_cbranch_execz .LBB12_383
; %bb.376:
	v_mov_b32_e32 v12, 0
	global_load_dwordx2 v[15:16], v12, s[10:11] offset:32 glc
	global_load_dwordx2 v[0:1], v12, s[10:11] offset:40
	v_mov_b32_e32 v13, s12
	v_mov_b32_e32 v14, s13
	s_waitcnt vmcnt(0)
	v_readfirstlane_b32 s16, v0
	v_readfirstlane_b32 s17, v1
	s_and_b64 s[16:17], s[16:17], s[12:13]
	s_mul_i32 s17, s17, 24
	s_mul_hi_u32 s18, s16, 24
	s_mul_i32 s16, s16, 24
	s_add_i32 s17, s18, s17
	v_mov_b32_e32 v0, s17
	v_add_co_u32_e32 v4, vcc, s16, v4
	v_addc_co_u32_e32 v5, vcc, v5, v0, vcc
	global_store_dwordx2 v[4:5], v[15:16], off
	s_waitcnt vmcnt(0)
	global_atomic_cmpswap_x2 v[2:3], v12, v[13:16], s[10:11] offset:32 glc
	s_waitcnt vmcnt(0)
	v_cmp_ne_u64_e32 vcc, v[2:3], v[15:16]
	s_and_saveexec_b64 s[16:17], vcc
	s_cbranch_execz .LBB12_379
; %bb.377:
	s_mov_b64 s[18:19], 0
.LBB12_378:                             ; =>This Inner Loop Header: Depth=1
	s_sleep 1
	global_store_dwordx2 v[4:5], v[2:3], off
	v_mov_b32_e32 v0, s12
	v_mov_b32_e32 v1, s13
	s_waitcnt vmcnt(0)
	global_atomic_cmpswap_x2 v[0:1], v12, v[0:3], s[10:11] offset:32 glc
	s_waitcnt vmcnt(0)
	v_cmp_eq_u64_e32 vcc, v[0:1], v[2:3]
	v_mov_b32_e32 v3, v1
	s_or_b64 s[18:19], vcc, s[18:19]
	v_mov_b32_e32 v2, v0
	s_andn2_b64 exec, exec, s[18:19]
	s_cbranch_execnz .LBB12_378
.LBB12_379:
	s_or_b64 exec, exec, s[16:17]
	v_mov_b32_e32 v3, 0
	global_load_dwordx2 v[0:1], v3, s[10:11] offset:16
	s_mov_b64 s[16:17], exec
	v_mbcnt_lo_u32_b32 v2, s16, 0
	v_mbcnt_hi_u32_b32 v2, s17, v2
	v_cmp_eq_u32_e32 vcc, 0, v2
	s_and_saveexec_b64 s[18:19], vcc
	s_cbranch_execz .LBB12_381
; %bb.380:
	s_bcnt1_i32_b64 s16, s[16:17]
	v_mov_b32_e32 v2, s16
	s_waitcnt vmcnt(0)
	global_atomic_add_x2 v[0:1], v[2:3], off offset:8
.LBB12_381:
	s_or_b64 exec, exec, s[18:19]
	s_waitcnt vmcnt(0)
	global_load_dwordx2 v[2:3], v[0:1], off offset:16
	s_waitcnt vmcnt(0)
	v_cmp_eq_u64_e32 vcc, 0, v[2:3]
	s_cbranch_vccnz .LBB12_383
; %bb.382:
	global_load_dword v0, v[0:1], off offset:24
	v_mov_b32_e32 v1, 0
	s_waitcnt vmcnt(0)
	v_readfirstlane_b32 s16, v0
	s_and_b32 m0, s16, 0xffffff
	global_store_dwordx2 v[2:3], v[0:1], off
	s_sendmsg sendmsg(MSG_INTERRUPT)
.LBB12_383:
	s_or_b64 exec, exec, s[14:15]
	s_branch .LBB12_387
.LBB12_384:                             ;   in Loop: Header=BB12_387 Depth=1
	s_or_b64 exec, exec, s[14:15]
	v_readfirstlane_b32 s14, v0
	s_cmp_eq_u32 s14, 0
	s_cbranch_scc1 .LBB12_386
; %bb.385:                              ;   in Loop: Header=BB12_387 Depth=1
	s_sleep 1
	s_cbranch_execnz .LBB12_387
	s_branch .LBB12_389
.LBB12_386:
	s_branch .LBB12_389
.LBB12_387:                             ; =>This Inner Loop Header: Depth=1
	v_mov_b32_e32 v0, 1
	s_and_saveexec_b64 s[14:15], s[4:5]
	s_cbranch_execz .LBB12_384
; %bb.388:                              ;   in Loop: Header=BB12_387 Depth=1
	global_load_dword v0, v[10:11], off offset:20 glc
	s_waitcnt vmcnt(0)
	buffer_wbinvl1_vol
	v_and_b32_e32 v0, 1, v0
	s_branch .LBB12_384
.LBB12_389:
	global_load_dwordx2 v[0:1], v[6:7], off
	s_and_saveexec_b64 s[14:15], s[4:5]
	s_cbranch_execz .LBB12_392
; %bb.390:
	v_mov_b32_e32 v10, 0
	global_load_dwordx2 v[2:3], v10, s[10:11] offset:40
	global_load_dwordx2 v[13:14], v10, s[10:11] offset:24 glc
	global_load_dwordx2 v[4:5], v10, s[10:11]
	s_waitcnt vmcnt(2)
	v_readfirstlane_b32 s16, v2
	v_readfirstlane_b32 s17, v3
	s_add_u32 s18, s16, 1
	s_addc_u32 s19, s17, 0
	s_add_u32 s4, s18, s12
	s_addc_u32 s5, s19, s13
	s_cmp_eq_u64 s[4:5], 0
	s_cselect_b32 s5, s19, s5
	s_cselect_b32 s4, s18, s4
	s_and_b64 s[12:13], s[4:5], s[16:17]
	s_mul_i32 s13, s13, 24
	s_mul_hi_u32 s16, s12, 24
	s_mul_i32 s12, s12, 24
	s_add_i32 s13, s16, s13
	v_mov_b32_e32 v2, s13
	s_waitcnt vmcnt(0)
	v_add_co_u32_e32 v6, vcc, s12, v4
	v_addc_co_u32_e32 v7, vcc, v5, v2, vcc
	v_mov_b32_e32 v11, s4
	global_store_dwordx2 v[6:7], v[13:14], off
	v_mov_b32_e32 v12, s5
	s_waitcnt vmcnt(0)
	global_atomic_cmpswap_x2 v[4:5], v10, v[11:14], s[10:11] offset:24 glc
	s_mov_b64 s[12:13], 0
	s_waitcnt vmcnt(0)
	v_cmp_ne_u64_e32 vcc, v[4:5], v[13:14]
	s_and_b64 exec, exec, vcc
	s_cbranch_execz .LBB12_392
.LBB12_391:                             ; =>This Inner Loop Header: Depth=1
	s_sleep 1
	global_store_dwordx2 v[6:7], v[4:5], off
	v_mov_b32_e32 v2, s4
	v_mov_b32_e32 v3, s5
	s_waitcnt vmcnt(0)
	global_atomic_cmpswap_x2 v[2:3], v10, v[2:5], s[10:11] offset:24 glc
	s_waitcnt vmcnt(0)
	v_cmp_eq_u64_e32 vcc, v[2:3], v[4:5]
	v_mov_b32_e32 v5, v3
	s_or_b64 s[12:13], vcc, s[12:13]
	v_mov_b32_e32 v4, v2
	s_andn2_b64 exec, exec, s[12:13]
	s_cbranch_execnz .LBB12_391
.LBB12_392:
	s_or_b64 exec, exec, s[14:15]
.LBB12_393:
	s_or_b64 exec, exec, s[6:7]
	v_mov_b32_e32 v2, v8
	s_mov_b64 s[4:5], 0
	v_mov_b32_e32 v3, v9
.LBB12_394:                             ; =>This Inner Loop Header: Depth=1
	global_load_ubyte v6, v[2:3], off
	v_add_co_u32_e32 v4, vcc, 1, v2
	v_addc_co_u32_e32 v5, vcc, 0, v3, vcc
	v_mov_b32_e32 v2, v4
	v_mov_b32_e32 v3, v5
	s_waitcnt vmcnt(0)
	v_cmp_eq_u16_e32 vcc, 0, v6
	s_or_b64 s[4:5], vcc, s[4:5]
	s_andn2_b64 exec, exec, s[4:5]
	s_cbranch_execnz .LBB12_394
; %bb.395:
	s_or_b64 exec, exec, s[4:5]
	v_sub_u32_e32 v4, v4, v8
	v_ashrrev_i32_e32 v5, 31, v4
	s_getpc_b64 s[4:5]
	s_add_u32 s4, s4, __ockl_fprintf_append_string_n@rel32@lo+4
	s_addc_u32 s5, s5, __ockl_fprintf_append_string_n@rel32@hi+12
	v_mov_b32_e32 v2, v8
	v_mov_b32_e32 v3, v9
	;; [unrolled: 1-line block ×3, first 2 shown]
	s_swappc_b64 s[30:31], s[4:5]
	s_trap 2
.Lfunc_end12:
	.size	__assert_fail, .Lfunc_end12-__assert_fail
                                        ; -- End function
	.set .L__assert_fail.num_vgpr, max(51, .L__ockl_fprintf_append_string_n.num_vgpr)
	.set .L__assert_fail.num_agpr, max(0, .L__ockl_fprintf_append_string_n.num_agpr)
	.set .L__assert_fail.numbered_sgpr, max(34, .L__ockl_fprintf_append_string_n.numbered_sgpr)
	.set .L__assert_fail.num_named_barrier, max(0, .L__ockl_fprintf_append_string_n.num_named_barrier)
	.set .L__assert_fail.private_seg_size, 64+max(.L__ockl_fprintf_append_string_n.private_seg_size)
	.set .L__assert_fail.uses_vcc, or(1, .L__ockl_fprintf_append_string_n.uses_vcc)
	.set .L__assert_fail.uses_flat_scratch, or(0, .L__ockl_fprintf_append_string_n.uses_flat_scratch)
	.set .L__assert_fail.has_dyn_sized_stack, or(0, .L__ockl_fprintf_append_string_n.has_dyn_sized_stack)
	.set .L__assert_fail.has_recursion, or(0, .L__ockl_fprintf_append_string_n.has_recursion)
	.set .L__assert_fail.has_indirect_call, or(0, .L__ockl_fprintf_append_string_n.has_indirect_call)
	.section	.AMDGPU.csdata,"",@progbits
; Function info:
; codeLenInByte = 13832
; TotalNumSgprs: 38
; NumVgprs: 51
; ScratchSize: 64
; MemoryBound: 0
	.section	.text._ZN9rocsolver6v33100L11stedcj_sortIffPfEEviPT0_lT1_iiliPiS6_,"axG",@progbits,_ZN9rocsolver6v33100L11stedcj_sortIffPfEEviPT0_lT1_iiliPiS6_,comdat
	.globl	_ZN9rocsolver6v33100L11stedcj_sortIffPfEEviPT0_lT1_iiliPiS6_ ; -- Begin function _ZN9rocsolver6v33100L11stedcj_sortIffPfEEviPT0_lT1_iiliPiS6_
	.p2align	8
	.type	_ZN9rocsolver6v33100L11stedcj_sortIffPfEEviPT0_lT1_iiliPiS6_,@function
_ZN9rocsolver6v33100L11stedcj_sortIffPfEEviPT0_lT1_iiliPiS6_: ; @_ZN9rocsolver6v33100L11stedcj_sortIffPfEEviPT0_lT1_iiliPiS6_
; %bb.0:
	s_load_dword s33, s[4:5], 0x30
	s_add_u32 flat_scratch_lo, s6, s10
	s_addc_u32 flat_scratch_hi, s7, 0
	s_add_u32 s0, s0, s10
	s_addc_u32 s1, s1, 0
	s_waitcnt lgkmcnt(0)
	s_cmp_ge_i32 s9, s33
	s_mov_b32 s32, 0
	s_cbranch_scc1 .LBB13_70
; %bb.1:
	s_load_dword s62, s[4:5], 0x0
	s_load_dwordx8 s[16:23], s[4:5], 0x8
	s_load_dwordx2 s[26:27], s[4:5], 0x28
	s_load_dwordx4 s[12:15], s[4:5], 0x38
	s_add_u32 s28, s4, 0x48
	s_waitcnt lgkmcnt(0)
	s_mul_hi_i32 s7, s62, s9
	s_mul_i32 s6, s62, s9
	s_addc_u32 s29, s5, 0
	s_lshl_b64 s[6:7], s[6:7], 2
	s_add_u32 s64, s12, s6
	s_addc_u32 s65, s13, s7
	s_cmp_lg_u64 s[20:21], 0
	s_mov_b32 s24, s9
	s_cselect_b64 s[8:9], -1, 0
	s_ashr_i32 s7, s22, 31
	s_mov_b32 s6, s22
	s_lshl_b64 s[6:7], s[6:7], 2
	s_add_u32 s66, s20, s6
	s_addc_u32 s67, s21, s7
	s_cmp_lg_u64 s[14:15], 0
	s_cselect_b64 s[20:21], -1, 0
	s_cmp_eq_u64 s[16:17], 0
	s_load_dword s63, s[4:5], 0x50
	s_cselect_b64 s[34:35], -1, 0
	s_cmp_lg_u64 s[12:13], 0
	s_cselect_b64 s[38:39], -1, 0
	s_min_i32 s10, s62, s23
	v_or3_b32 v3, v1, v2, v0
	s_cmp_gt_i32 s10, 0
	v_cmp_eq_u32_e64 s[6:7], 0, v3
	s_cselect_b64 s[10:11], -1, 0
	v_cndmask_b32_e64 v3, 0, 1, s[8:9]
	s_mov_b64 s[30:31], 0
	s_mov_b32 s37, 0
	s_mov_b32 s68, s23
	v_cndmask_b32_e64 v7, 0, 1, s[38:39]
	s_and_b64 s[40:41], s[10:11], s[38:39]
	v_mov_b32_e32 v4, 0
	v_cmp_ne_u32_e64 s[8:9], 1, v3
                                        ; implicit-def: $sgpr42_sgpr43
                                        ; implicit-def: $sgpr22_sgpr23
                                        ; implicit-def: $sgpr44_sgpr45
                                        ; implicit-def: $sgpr46_sgpr47
	s_branch .LBB13_4
.LBB13_2:                               ;   in Loop: Header=BB13_4 Depth=1
	s_or_b64 exec, exec, s[12:13]
	s_andn2_b64 s[10:11], s[46:47], exec
	s_and_b64 s[12:13], s[48:49], exec
	s_or_b64 s[46:47], s[10:11], s[12:13]
	s_andn2_b64 s[44:45], s[44:45], exec
	s_orn2_b64 s[12:13], s[52:53], exec
.LBB13_3:                               ;   in Loop: Header=BB13_4 Depth=1
	s_or_b64 exec, exec, s[50:51]
	s_and_b64 s[10:11], exec, s[12:13]
	s_or_b64 s[30:31], s[10:11], s[30:31]
	s_andn2_b64 s[10:11], s[22:23], exec
	s_and_b64 s[12:13], s[46:47], exec
	s_or_b64 s[22:23], s[10:11], s[12:13]
	s_andn2_b64 s[10:11], s[42:43], exec
	s_and_b64 s[12:13], s[44:45], exec
	s_or_b64 s[42:43], s[10:11], s[12:13]
	s_andn2_b64 exec, exec, s[30:31]
	s_cbranch_execz .LBB13_66
.LBB13_4:                               ; =>This Loop Header: Depth=1
                                        ;     Child Loop BB13_11 Depth 2
                                        ;     Child Loop BB13_15 Depth 2
                                        ;       Child Loop BB13_18 Depth 3
                                        ;         Child Loop BB13_22 Depth 4
                                        ;     Child Loop BB13_33 Depth 2
                                        ;     Child Loop BB13_47 Depth 2
                                        ;       Child Loop BB13_49 Depth 3
                                        ;         Child Loop BB13_54 Depth 4
                                        ;     Child Loop BB13_58 Depth 2
	s_ashr_i32 s25, s24, 31
	s_and_b64 vcc, exec, s[8:9]
	s_mov_b64 s[48:49], 0
	s_cbranch_vccnz .LBB13_6
; %bb.5:                                ;   in Loop: Header=BB13_4 Depth=1
	s_mul_i32 s10, s26, s25
	s_mul_hi_u32 s11, s26, s24
	s_add_i32 s10, s11, s10
	s_mul_i32 s11, s27, s24
	s_add_i32 s11, s10, s11
	s_mul_i32 s10, s26, s24
	s_lshl_b64 s[10:11], s[10:11], 2
	s_add_u32 s48, s66, s10
	s_addc_u32 s49, s67, s11
.LBB13_6:                               ;   in Loop: Header=BB13_4 Depth=1
	s_andn2_b64 vcc, exec, s[20:21]
	s_mov_b32 s69, s62
	s_cbranch_vccnz .LBB13_8
; %bb.7:                                ;   in Loop: Header=BB13_4 Depth=1
	s_lshl_b64 s[10:11], s[24:25], 2
	s_add_u32 s10, s14, s10
	s_addc_u32 s11, s15, s11
	global_load_dword v3, v4, s[10:11]
	s_waitcnt vmcnt(0)
	v_readfirstlane_b32 s69, v3
.LBB13_8:                               ;   in Loop: Header=BB13_4 Depth=1
	s_cmp_lt_i32 s69, 1
	s_cselect_b64 s[10:11], -1, 0
	s_or_b64 s[10:11], s[34:35], s[10:11]
	s_mov_b64 s[12:13], -1
	s_and_b64 vcc, exec, s[10:11]
	s_mov_b64 s[10:11], -1
	s_waitcnt lgkmcnt(0)
	s_barrier
	s_cbranch_vccnz .LBB13_42
; %bb.9:                                ;   in Loop: Header=BB13_4 Depth=1
	s_load_dwordx2 s[10:11], s[28:29], 0xc
	s_waitcnt lgkmcnt(0)
	s_barrier
	s_lshr_b32 s36, s10, 16
	s_and_b32 s10, s10, 0xffff
	s_mul_i32 s70, s36, s10
	v_mul_lo_u32 v3, s70, v2
	v_mul_u32_u24_e32 v5, s10, v1
	s_and_b32 s11, s11, 0xffff
	s_mul_i32 s70, s70, s11
	v_add3_u32 v5, v5, v0, v3
	v_cmp_gt_u32_e32 vcc, s69, v5
	s_and_b64 s[50:51], s[38:39], vcc
	s_and_saveexec_b64 s[10:11], s[50:51]
	s_cbranch_execz .LBB13_12
; %bb.10:                               ;   in Loop: Header=BB13_4 Depth=1
	s_mov_b64 s[50:51], 0
	v_mov_b32_e32 v3, v5
.LBB13_11:                              ;   Parent Loop BB13_4 Depth=1
                                        ; =>  This Inner Loop Header: Depth=2
	v_lshlrev_b64 v[8:9], 2, v[3:4]
	v_mov_b32_e32 v6, s65
	v_add_co_u32_e32 v8, vcc, s64, v8
	v_addc_co_u32_e32 v9, vcc, v6, v9, vcc
	global_store_dword v[8:9], v3, off
	v_add_u32_e32 v3, s70, v3
	v_cmp_le_u32_e32 vcc, s69, v3
	s_or_b64 s[50:51], vcc, s[50:51]
	s_andn2_b64 exec, exec, s[50:51]
	s_cbranch_execnz .LBB13_11
.LBB13_12:                              ;   in Loop: Header=BB13_4 Depth=1
	s_or_b64 exec, exec, s[10:11]
	s_mul_i32 s10, s18, s25
	s_mul_hi_u32 s11, s18, s24
	s_add_i32 s10, s11, s10
	s_mul_i32 s11, s19, s24
	s_add_i32 s11, s10, s11
	s_mul_i32 s10, s18, s24
	s_lshl_b64 s[10:11], s[10:11], 2
	s_add_u32 s25, s16, s10
	s_addc_u32 s71, s17, s11
	s_waitcnt vmcnt(0)
	s_barrier
	s_and_saveexec_b64 s[50:51], s[6:7]
	s_cbranch_execz .LBB13_29
; %bb.13:                               ;   in Loop: Header=BB13_4 Depth=1
	s_mov_b32 s52, 0
	s_branch .LBB13_15
.LBB13_14:                              ;   in Loop: Header=BB13_15 Depth=2
	s_add_i32 s52, s52, 1
	s_cmp_eq_u32 s52, 8
	s_cbranch_scc1 .LBB13_29
.LBB13_15:                              ;   Parent Loop BB13_4 Depth=1
                                        ; =>  This Loop Header: Depth=2
                                        ;       Child Loop BB13_18 Depth 3
                                        ;         Child Loop BB13_22 Depth 4
	s_mov_b32 s53, s37
	s_lshl_b64 s[10:11], s[52:53], 2
	s_getpc_b64 s[54:55]
	s_add_u32 s54, s54, __const._ZN9rocsolver6v33100L20shell_sort_ascendingIfiEEvT0_PT_PS2_.gaps@rel32@lo+4
	s_addc_u32 s55, s55, __const._ZN9rocsolver6v33100L20shell_sort_ascendingIfiEEvT0_PT_PS2_.gaps@rel32@hi+12
	s_add_u32 s10, s54, s10
	s_addc_u32 s11, s55, s11
	s_load_dword s53, s[10:11], 0x0
	s_waitcnt lgkmcnt(0)
	s_cmp_ge_i32 s53, s69
	s_cbranch_scc1 .LBB13_14
; %bb.16:                               ;   in Loop: Header=BB13_15 Depth=2
	s_mov_b32 s72, 0
	s_mov_b32 s54, s53
	s_branch .LBB13_18
.LBB13_17:                              ;   in Loop: Header=BB13_18 Depth=3
	s_add_i32 s54, s54, 1
	s_add_i32 s72, s72, 1
	s_cmp_ge_i32 s54, s69
	s_cbranch_scc1 .LBB13_14
.LBB13_18:                              ;   Parent Loop BB13_4 Depth=1
                                        ;     Parent Loop BB13_15 Depth=2
                                        ; =>    This Loop Header: Depth=3
                                        ;         Child Loop BB13_22 Depth 4
	s_ashr_i32 s55, s54, 31
	s_lshl_b64 s[56:57], s[54:55], 2
	s_add_u32 s10, s25, s56
	s_addc_u32 s11, s71, s57
	global_load_dword v3, v4, s[10:11]
	v_cmp_ne_u32_e64 s[10:11], 1, v7
	s_andn2_b64 vcc, exec, s[38:39]
	s_cbranch_vccnz .LBB13_20
; %bb.19:                               ;   in Loop: Header=BB13_18 Depth=3
	s_add_u32 s56, s64, s56
	s_addc_u32 s57, s65, s57
	global_load_dword v6, v4, s[56:57]
	s_cmp_lt_i32 s54, s53
	s_mov_b64 s[56:57], s[54:55]
	s_mov_b32 s36, s72
	s_cbranch_scc0 .LBB13_22
	s_branch .LBB13_27
.LBB13_20:                              ;   in Loop: Header=BB13_18 Depth=3
	v_mov_b32_e32 v6, 0
	s_cmp_lt_i32 s54, s53
	s_mov_b64 s[56:57], s[54:55]
	s_mov_b32 s36, s72
	s_cbranch_scc0 .LBB13_22
	s_branch .LBB13_27
.LBB13_21:                              ;   in Loop: Header=BB13_22 Depth=4
                                        ; implicit-def: $sgpr55
	s_and_b64 vcc, exec, s[60:61]
	s_mov_b32 s36, s55
	s_cbranch_vccnz .LBB13_26
.LBB13_22:                              ;   Parent Loop BB13_4 Depth=1
                                        ;     Parent Loop BB13_15 Depth=2
                                        ;       Parent Loop BB13_18 Depth=3
                                        ; =>      This Inner Loop Header: Depth=4
	s_add_i32 s56, s53, s36
	s_lshl_b64 s[58:59], s[36:37], 2
	s_add_u32 s60, s25, s58
	s_addc_u32 s61, s71, s59
	global_load_dword v8, v4, s[60:61]
	s_mov_b64 s[60:61], -1
	s_waitcnt vmcnt(0)
	v_cmp_ngt_f32_e32 vcc, v8, v3
	s_cbranch_vccnz .LBB13_21
; %bb.23:                               ;   in Loop: Header=BB13_22 Depth=4
	s_ashr_i32 s57, s56, 31
	s_lshl_b64 s[56:57], s[56:57], 2
	s_add_u32 s60, s25, s56
	s_addc_u32 s61, s71, s57
	s_and_b64 vcc, exec, s[10:11]
	global_store_dword v4, v8, s[60:61]
	s_cbranch_vccnz .LBB13_25
; %bb.24:                               ;   in Loop: Header=BB13_22 Depth=4
	s_add_u32 s56, s64, s56
	s_addc_u32 s57, s65, s57
	s_add_u32 s58, s64, s58
	s_addc_u32 s59, s65, s59
	global_load_dword v8, v4, s[58:59]
	s_waitcnt vmcnt(0)
	global_store_dword v4, v8, s[56:57]
.LBB13_25:                              ;   in Loop: Header=BB13_22 Depth=4
	s_sub_i32 s55, s36, s53
	s_cmp_lt_i32 s36, s53
	s_cselect_b64 s[60:61], -1, 0
	s_mov_b32 s56, s36
	s_and_b64 vcc, exec, s[60:61]
	s_mov_b32 s36, s55
	s_cbranch_vccz .LBB13_22
.LBB13_26:                              ;   in Loop: Header=BB13_18 Depth=3
	s_ashr_i32 s57, s56, 31
.LBB13_27:                              ;   in Loop: Header=BB13_18 Depth=3
	s_lshl_b64 s[56:57], s[56:57], 2
	s_add_u32 s58, s25, s56
	s_addc_u32 s59, s71, s57
	s_and_b64 vcc, exec, s[10:11]
	s_waitcnt vmcnt(0)
	global_store_dword v4, v3, s[58:59]
	s_cbranch_vccnz .LBB13_17
; %bb.28:                               ;   in Loop: Header=BB13_18 Depth=3
	s_add_u32 s10, s64, s56
	s_addc_u32 s11, s65, s57
	global_store_dword v4, v6, s[10:11]
	s_branch .LBB13_17
.LBB13_29:                              ;   in Loop: Header=BB13_4 Depth=1
	s_or_b64 exec, exec, s[50:51]
	s_cmp_lt_u32 s69, 2
	s_cselect_b64 s[52:53], -1, 0
	s_and_b64 vcc, exec, s[52:53]
	s_waitcnt vmcnt(0)
	s_barrier
	s_cbranch_vccnz .LBB13_39
; %bb.30:                               ;   in Loop: Header=BB13_4 Depth=1
	s_add_i32 s36, s69, -1
	v_cmp_gt_u32_e32 vcc, s36, v5
	s_mov_b64 s[52:53], -1
	s_and_saveexec_b64 s[50:51], vcc
	s_cbranch_execz .LBB13_38
; %bb.31:                               ;   in Loop: Header=BB13_4 Depth=1
	s_mov_b64 s[52:53], 0
	v_mov_b32_e32 v8, s71
	v_mov_b32_e32 v3, v5
                                        ; implicit-def: $sgpr54_sgpr55
	s_branch .LBB13_33
.LBB13_32:                              ;   in Loop: Header=BB13_33 Depth=2
	s_or_b64 exec, exec, s[60:61]
	s_xor_b64 s[56:57], s[58:59], -1
	s_and_b64 s[10:11], exec, s[10:11]
	s_or_b64 s[52:53], s[10:11], s[52:53]
	s_andn2_b64 s[10:11], s[54:55], exec
	s_and_b64 s[54:55], s[56:57], exec
	s_or_b64 s[54:55], s[10:11], s[54:55]
	s_andn2_b64 exec, exec, s[52:53]
	s_cbranch_execz .LBB13_37
.LBB13_33:                              ;   Parent Loop BB13_4 Depth=1
                                        ; =>  This Inner Loop Header: Depth=2
	v_lshlrev_b64 v[5:6], 2, v[3:4]
	v_add_co_u32_e32 v5, vcc, s25, v5
	v_addc_co_u32_e32 v6, vcc, v8, v6, vcc
	global_load_dword v9, v[5:6], off
	s_waitcnt vmcnt(0)
	v_cmp_u_f32_e64 s[56:57], v9, v9
	v_cmp_o_f32_e32 vcc, v9, v9
	s_and_saveexec_b64 s[58:59], vcc
	s_cbranch_execz .LBB13_35
; %bb.34:                               ;   in Loop: Header=BB13_33 Depth=2
	global_load_dword v5, v[5:6], off offset:4
	s_andn2_b64 s[56:57], s[56:57], exec
	s_waitcnt vmcnt(0)
	v_cmp_u_f32_e32 vcc, v5, v5
	v_cmp_le_f32_e64 s[10:11], v9, v5
	s_or_b64 s[10:11], vcc, s[10:11]
	s_and_b64 s[10:11], s[10:11], exec
	s_or_b64 s[56:57], s[56:57], s[10:11]
.LBB13_35:                              ;   in Loop: Header=BB13_33 Depth=2
	s_or_b64 exec, exec, s[58:59]
	s_mov_b64 s[10:11], -1
	s_mov_b64 s[58:59], -1
	s_and_saveexec_b64 s[60:61], s[56:57]
	s_cbranch_execz .LBB13_32
; %bb.36:                               ;   in Loop: Header=BB13_33 Depth=2
	v_add_u32_e32 v3, s70, v3
	v_cmp_le_u32_e32 vcc, s36, v3
	s_xor_b64 s[58:59], exec, -1
	s_orn2_b64 s[10:11], vcc, exec
	s_branch .LBB13_32
.LBB13_37:                              ;   in Loop: Header=BB13_4 Depth=1
	s_or_b64 exec, exec, s[52:53]
	s_orn2_b64 s[52:53], s[54:55], exec
.LBB13_38:                              ;   in Loop: Header=BB13_4 Depth=1
	s_or_b64 exec, exec, s[50:51]
.LBB13_39:                              ;   in Loop: Header=BB13_4 Depth=1
	s_mov_b64 s[10:11], 0
	s_and_saveexec_b64 s[50:51], s[52:53]
	s_cbranch_execz .LBB13_41
; %bb.40:                               ;   in Loop: Header=BB13_4 Depth=1
	s_mov_b64 s[10:11], exec
	s_barrier
.LBB13_41:                              ;   in Loop: Header=BB13_4 Depth=1
	s_or_b64 exec, exec, s[50:51]
.LBB13_42:                              ;   in Loop: Header=BB13_4 Depth=1
	s_andn2_b64 s[46:47], s[46:47], exec
	s_or_b64 s[44:45], s[44:45], exec
	s_and_saveexec_b64 s[50:51], s[10:11]
	s_cbranch_execz .LBB13_3
; %bb.43:                               ;   in Loop: Header=BB13_4 Depth=1
	s_cmp_lg_u64 s[48:49], 0
	s_cselect_b64 s[10:11], -1, 0
	s_and_b64 s[10:11], s[10:11], s[40:41]
	s_mov_b64 s[52:53], -1
	s_and_b64 vcc, exec, s[10:11]
	s_mov_b64 s[10:11], -1
	s_barrier
	s_cbranch_vccz .LBB13_64
; %bb.44:                               ;   in Loop: Header=BB13_4 Depth=1
	s_load_dwordx2 s[10:11], s[28:29], 0xc
	s_waitcnt lgkmcnt(0)
	s_lshr_b32 s12, s10, 16
	s_and_b32 s10, s10, 0xffff
	v_mul_u32_u24_e32 v3, s10, v1
	s_mul_i32 s10, s12, s10
	v_mul_lo_u32 v5, s10, v2
	s_and_b32 s11, s11, 0xffff
	s_cmp_lt_i32 s69, 0
	s_cselect_b32 s25, s62, s69
	s_cmp_eq_u32 s25, 0
	v_add3_u32 v5, v3, v0, v5
	s_mul_i32 s69, s10, s11
	s_cbranch_scc1 .LBB13_55
; %bb.45:                               ;   in Loop: Header=BB13_4 Depth=1
	s_mov_b32 s36, 0
	v_cmp_eq_u32_e64 s[10:11], 0, v5
	v_cmp_gt_u32_e64 s[12:13], s62, v5
	s_branch .LBB13_47
.LBB13_46:                              ;   in Loop: Header=BB13_47 Depth=2
	s_add_i32 s36, s36, 1
	s_cmp_eq_u32 s36, s25
	s_cbranch_scc1 .LBB13_55
.LBB13_47:                              ;   Parent Loop BB13_4 Depth=1
                                        ; =>  This Loop Header: Depth=2
                                        ;       Child Loop BB13_49 Depth 3
                                        ;         Child Loop BB13_54 Depth 4
	s_lshl_b64 s[54:55], s[36:37], 2
	s_add_u32 s54, s64, s54
	s_addc_u32 s55, s65, s55
	s_barrier
	s_branch .LBB13_49
.LBB13_48:                              ;   in Loop: Header=BB13_49 Depth=3
	s_or_b64 exec, exec, s[56:57]
	s_waitcnt vmcnt(0)
	s_barrier
.LBB13_49:                              ;   Parent Loop BB13_4 Depth=1
                                        ;     Parent Loop BB13_47 Depth=2
                                        ; =>    This Loop Header: Depth=3
                                        ;         Child Loop BB13_54 Depth 4
	global_load_dword v3, v4, s[54:55]
	s_waitcnt vmcnt(0)
	v_cmp_eq_u32_e32 vcc, s36, v3
	v_readfirstlane_b32 s58, v3
	s_cbranch_vccnz .LBB13_46
; %bb.50:                               ;   in Loop: Header=BB13_49 Depth=3
	s_ashr_i32 s59, s58, 31
	s_lshl_b64 s[56:57], s[58:59], 2
	s_add_u32 s56, s64, s56
	s_addc_u32 s57, s65, s57
	global_load_dword v3, v4, s[56:57]
	s_waitcnt vmcnt(0)
	s_barrier
	v_readfirstlane_b32 s70, v3
	s_and_saveexec_b64 s[60:61], s[10:11]
	s_cbranch_execz .LBB13_52
; %bb.51:                               ;   in Loop: Header=BB13_49 Depth=3
	v_mov_b32_e32 v3, s58
	global_store_dword v4, v3, s[56:57]
	v_mov_b32_e32 v3, s70
	global_store_dword v4, v3, s[54:55]
.LBB13_52:                              ;   in Loop: Header=BB13_49 Depth=3
	s_or_b64 exec, exec, s[60:61]
	s_waitcnt vmcnt(0)
	s_barrier
	s_and_saveexec_b64 s[56:57], s[12:13]
	s_cbranch_execz .LBB13_48
; %bb.53:                               ;   in Loop: Header=BB13_49 Depth=3
	s_mul_i32 s59, s59, s68
	s_mul_hi_u32 s60, s58, s68
	s_add_i32 s59, s60, s59
	s_ashr_i32 s60, s70, 31
	s_mul_i32 s58, s58, s68
	s_mul_hi_u32 s61, s70, s68
	s_mul_i32 s60, s60, s68
	s_add_i32 s71, s61, s60
	s_lshl_b64 s[58:59], s[58:59], 2
	s_mul_i32 s70, s70, s68
	s_add_u32 s60, s48, s58
	s_addc_u32 s61, s49, s59
	s_lshl_b64 s[58:59], s[70:71], 2
	s_add_u32 s70, s48, s58
	s_addc_u32 s71, s49, s59
	s_mov_b64 s[58:59], 0
	v_mov_b32_e32 v3, v5
.LBB13_54:                              ;   Parent Loop BB13_4 Depth=1
                                        ;     Parent Loop BB13_47 Depth=2
                                        ;       Parent Loop BB13_49 Depth=3
                                        ; =>      This Inner Loop Header: Depth=4
	v_lshlrev_b64 v[8:9], 2, v[3:4]
	v_mov_b32_e32 v6, s61
	v_add_co_u32_e32 v10, vcc, s60, v8
	v_addc_co_u32_e32 v11, vcc, v6, v9, vcc
	v_mov_b32_e32 v12, s71
	v_add_co_u32_e32 v8, vcc, s70, v8
	v_addc_co_u32_e32 v9, vcc, v12, v9, vcc
	global_load_dword v6, v[8:9], off
	global_load_dword v12, v[10:11], off
	v_add_u32_e32 v3, s69, v3
	v_cmp_le_u32_e32 vcc, s62, v3
	s_or_b64 s[58:59], vcc, s[58:59]
	s_waitcnt vmcnt(1)
	global_store_dword v[10:11], v6, off
	s_waitcnt vmcnt(1)
	global_store_dword v[8:9], v12, off
	s_andn2_b64 exec, exec, s[58:59]
	s_cbranch_execnz .LBB13_54
	s_branch .LBB13_48
.LBB13_55:                              ;   in Loop: Header=BB13_4 Depth=1
	v_cmp_gt_u32_e32 vcc, s25, v5
	s_mov_b64 s[12:13], -1
	s_barrier
	s_and_saveexec_b64 s[10:11], vcc
	s_cbranch_execz .LBB13_61
; %bb.56:                               ;   in Loop: Header=BB13_4 Depth=1
	s_mov_b64 s[12:13], 0
	v_mov_b32_e32 v3, v5
                                        ; implicit-def: $sgpr48_sgpr49
                                        ; implicit-def: $sgpr56_sgpr57
                                        ; implicit-def: $sgpr54_sgpr55
	s_branch .LBB13_58
.LBB13_57:                              ;   in Loop: Header=BB13_58 Depth=2
	s_or_b64 exec, exec, s[58:59]
	s_xor_b64 s[58:59], s[54:55], -1
	s_and_b64 s[60:61], exec, s[56:57]
	s_or_b64 s[12:13], s[60:61], s[12:13]
	s_andn2_b64 s[48:49], s[48:49], exec
	s_and_b64 s[58:59], s[58:59], exec
	s_or_b64 s[48:49], s[48:49], s[58:59]
	s_andn2_b64 exec, exec, s[12:13]
	s_cbranch_execz .LBB13_60
.LBB13_58:                              ;   Parent Loop BB13_4 Depth=1
                                        ; =>  This Inner Loop Header: Depth=2
	v_lshlrev_b64 v[5:6], 2, v[3:4]
	v_mov_b32_e32 v8, s65
	v_add_co_u32_e32 v5, vcc, s64, v5
	v_addc_co_u32_e32 v6, vcc, v8, v6, vcc
	global_load_dword v5, v[5:6], off
	s_or_b64 s[54:55], s[54:55], exec
	s_or_b64 s[56:57], s[56:57], exec
	s_waitcnt vmcnt(0)
	v_cmp_eq_u32_e32 vcc, v3, v5
	s_and_saveexec_b64 s[58:59], vcc
	s_cbranch_execz .LBB13_57
; %bb.59:                               ;   in Loop: Header=BB13_58 Depth=2
	v_add_u32_e32 v3, s69, v3
	v_cmp_le_u32_e32 vcc, s25, v3
	s_andn2_b64 s[56:57], s[56:57], exec
	s_and_b64 s[60:61], vcc, exec
	s_andn2_b64 s[54:55], s[54:55], exec
	s_or_b64 s[56:57], s[56:57], s[60:61]
	s_branch .LBB13_57
.LBB13_60:                              ;   in Loop: Header=BB13_4 Depth=1
	s_or_b64 exec, exec, s[12:13]
	s_orn2_b64 s[12:13], s[48:49], exec
.LBB13_61:                              ;   in Loop: Header=BB13_4 Depth=1
	s_or_b64 exec, exec, s[10:11]
	s_mov_b64 s[10:11], 0
	s_and_saveexec_b64 s[48:49], s[12:13]
	s_cbranch_execz .LBB13_63
; %bb.62:                               ;   in Loop: Header=BB13_4 Depth=1
	s_mov_b64 s[10:11], exec
	s_barrier
.LBB13_63:                              ;   in Loop: Header=BB13_4 Depth=1
	s_or_b64 exec, exec, s[48:49]
.LBB13_64:                              ;   in Loop: Header=BB13_4 Depth=1
	s_mov_b64 s[48:49], -1
	s_and_saveexec_b64 s[12:13], s[10:11]
	s_cbranch_execz .LBB13_2
; %bb.65:                               ;   in Loop: Header=BB13_4 Depth=1
	s_add_i32 s24, s24, s63
	s_cmp_ge_i32 s24, s33
	s_cselect_b64 s[10:11], -1, 0
	s_xor_b64 s[48:49], exec, -1
	s_orn2_b64 s[52:53], s[10:11], exec
	s_barrier
	s_branch .LBB13_2
.LBB13_66:
	s_or_b64 exec, exec, s[30:31]
	s_xor_b64 s[6:7], s[42:43], -1
	s_mov_b64 s[26:27], 0
	s_and_saveexec_b64 s[8:9], s[6:7]
	s_xor_b64 s[28:29], exec, s[8:9]
	s_cbranch_execnz .LBB13_71
; %bb.67:
	s_andn2_saveexec_b64 s[28:29], s[28:29]
	s_cbranch_execnz .LBB13_74
.LBB13_68:
	s_or_b64 exec, exec, s[28:29]
	s_and_saveexec_b64 s[4:5], s[26:27]
.LBB13_69:
	; divergent unreachable
.LBB13_70:
	s_endpgm
.LBB13_71:
	s_mov_b64 s[6:7], 0
	s_and_saveexec_b64 s[8:9], s[22:23]
	s_xor_b64 s[26:27], exec, s[8:9]
	s_cbranch_execz .LBB13_73
; %bb.72:
	s_add_u32 s8, s4, 0x48
	s_addc_u32 s9, s5, 0
	s_getpc_b64 s[6:7]
	s_add_u32 s6, s6, .str.8@rel32@lo+4
	s_addc_u32 s7, s7, .str.8@rel32@hi+12
	s_getpc_b64 s[10:11]
	s_add_u32 s10, s10, __PRETTY_FUNCTION__._ZN9rocsolver6v33100L12permute_swapIfiEEvT0_PT_S2_PS2_S2_@rel32@lo+4
	s_addc_u32 s11, s11, __PRETTY_FUNCTION__._ZN9rocsolver6v33100L12permute_swapIfiEEvT0_PT_S2_PS2_S2_@rel32@hi+12
	s_getpc_b64 s[12:13]
	s_add_u32 s12, s12, __assert_fail@rel32@lo+4
	s_addc_u32 s13, s13, __assert_fail@rel32@hi+12
	v_mov_b32_e32 v0, s6
	v_mov_b32_e32 v1, s7
	;; [unrolled: 1-line block ×5, first 2 shown]
	s_mov_b64 s[34:35], s[4:5]
	s_swappc_b64 s[30:31], s[12:13]
	s_mov_b64 s[4:5], s[34:35]
	s_mov_b64 s[6:7], exec
.LBB13_73:
	s_or_b64 exec, exec, s[26:27]
	s_and_b64 s[26:27], s[6:7], exec
	s_andn2_saveexec_b64 s[28:29], s[28:29]
	s_cbranch_execz .LBB13_68
.LBB13_74:
	s_add_u32 s8, s4, 0x48
	s_addc_u32 s9, s5, 0
	s_getpc_b64 s[4:5]
	s_add_u32 s4, s4, .str.5@rel32@lo+4
	s_addc_u32 s5, s5, .str.5@rel32@hi+12
	s_getpc_b64 s[6:7]
	s_add_u32 s6, s6, __PRETTY_FUNCTION__._ZN9rocsolver6v33100L20shell_sort_ascendingIfiEEvT0_PT_PS2_@rel32@lo+4
	s_addc_u32 s7, s7, __PRETTY_FUNCTION__._ZN9rocsolver6v33100L20shell_sort_ascendingIfiEEvT0_PT_PS2_@rel32@hi+12
	s_getpc_b64 s[10:11]
	s_add_u32 s10, s10, __assert_fail@rel32@lo+4
	s_addc_u32 s11, s11, __assert_fail@rel32@hi+12
	v_mov_b32_e32 v0, s4
	v_mov_b32_e32 v1, s5
	;; [unrolled: 1-line block ×5, first 2 shown]
	s_swappc_b64 s[30:31], s[10:11]
	s_or_b64 s[26:27], s[26:27], exec
	s_or_b64 exec, exec, s[28:29]
	s_and_saveexec_b64 s[4:5], s[26:27]
	s_cbranch_execnz .LBB13_69
	s_branch .LBB13_70
	.section	.rodata,"a",@progbits
	.p2align	6, 0x0
	.amdhsa_kernel _ZN9rocsolver6v33100L11stedcj_sortIffPfEEviPT0_lT1_iiliPiS6_
		.amdhsa_group_segment_fixed_size 0
		.amdhsa_private_segment_fixed_size 64
		.amdhsa_kernarg_size 328
		.amdhsa_user_sgpr_count 8
		.amdhsa_user_sgpr_private_segment_buffer 1
		.amdhsa_user_sgpr_dispatch_ptr 0
		.amdhsa_user_sgpr_queue_ptr 0
		.amdhsa_user_sgpr_kernarg_segment_ptr 1
		.amdhsa_user_sgpr_dispatch_id 0
		.amdhsa_user_sgpr_flat_scratch_init 1
		.amdhsa_user_sgpr_private_segment_size 0
		.amdhsa_uses_dynamic_stack 0
		.amdhsa_system_sgpr_private_segment_wavefront_offset 1
		.amdhsa_system_sgpr_workgroup_id_x 1
		.amdhsa_system_sgpr_workgroup_id_y 0
		.amdhsa_system_sgpr_workgroup_id_z 1
		.amdhsa_system_sgpr_workgroup_info 0
		.amdhsa_system_vgpr_workitem_id 2
		.amdhsa_next_free_vgpr 51
		.amdhsa_next_free_sgpr 73
		.amdhsa_reserve_vcc 1
		.amdhsa_reserve_flat_scratch 1
		.amdhsa_float_round_mode_32 0
		.amdhsa_float_round_mode_16_64 0
		.amdhsa_float_denorm_mode_32 3
		.amdhsa_float_denorm_mode_16_64 3
		.amdhsa_dx10_clamp 1
		.amdhsa_ieee_mode 1
		.amdhsa_fp16_overflow 0
		.amdhsa_exception_fp_ieee_invalid_op 0
		.amdhsa_exception_fp_denorm_src 0
		.amdhsa_exception_fp_ieee_div_zero 0
		.amdhsa_exception_fp_ieee_overflow 0
		.amdhsa_exception_fp_ieee_underflow 0
		.amdhsa_exception_fp_ieee_inexact 0
		.amdhsa_exception_int_div_zero 0
	.end_amdhsa_kernel
	.section	.text._ZN9rocsolver6v33100L11stedcj_sortIffPfEEviPT0_lT1_iiliPiS6_,"axG",@progbits,_ZN9rocsolver6v33100L11stedcj_sortIffPfEEviPT0_lT1_iiliPiS6_,comdat
.Lfunc_end13:
	.size	_ZN9rocsolver6v33100L11stedcj_sortIffPfEEviPT0_lT1_iiliPiS6_, .Lfunc_end13-_ZN9rocsolver6v33100L11stedcj_sortIffPfEEviPT0_lT1_iiliPiS6_
                                        ; -- End function
	.set _ZN9rocsolver6v33100L11stedcj_sortIffPfEEviPT0_lT1_iiliPiS6_.num_vgpr, max(13, .L__assert_fail.num_vgpr)
	.set _ZN9rocsolver6v33100L11stedcj_sortIffPfEEviPT0_lT1_iiliPiS6_.num_agpr, max(0, .L__assert_fail.num_agpr)
	.set _ZN9rocsolver6v33100L11stedcj_sortIffPfEEviPT0_lT1_iiliPiS6_.numbered_sgpr, max(73, .L__assert_fail.numbered_sgpr)
	.set _ZN9rocsolver6v33100L11stedcj_sortIffPfEEviPT0_lT1_iiliPiS6_.num_named_barrier, max(0, .L__assert_fail.num_named_barrier)
	.set _ZN9rocsolver6v33100L11stedcj_sortIffPfEEviPT0_lT1_iiliPiS6_.private_seg_size, 0+max(.L__assert_fail.private_seg_size)
	.set _ZN9rocsolver6v33100L11stedcj_sortIffPfEEviPT0_lT1_iiliPiS6_.uses_vcc, or(1, .L__assert_fail.uses_vcc)
	.set _ZN9rocsolver6v33100L11stedcj_sortIffPfEEviPT0_lT1_iiliPiS6_.uses_flat_scratch, or(1, .L__assert_fail.uses_flat_scratch)
	.set _ZN9rocsolver6v33100L11stedcj_sortIffPfEEviPT0_lT1_iiliPiS6_.has_dyn_sized_stack, or(0, .L__assert_fail.has_dyn_sized_stack)
	.set _ZN9rocsolver6v33100L11stedcj_sortIffPfEEviPT0_lT1_iiliPiS6_.has_recursion, or(0, .L__assert_fail.has_recursion)
	.set _ZN9rocsolver6v33100L11stedcj_sortIffPfEEviPT0_lT1_iiliPiS6_.has_indirect_call, or(0, .L__assert_fail.has_indirect_call)
	.section	.AMDGPU.csdata,"",@progbits
; Kernel info:
; codeLenInByte = 2308
; TotalNumSgprs: 79
; NumVgprs: 51
; ScratchSize: 64
; MemoryBound: 0
; FloatMode: 240
; IeeeMode: 1
; LDSByteSize: 0 bytes/workgroup (compile time only)
; SGPRBlocks: 9
; VGPRBlocks: 12
; NumSGPRsForWavesPerEU: 79
; NumVGPRsForWavesPerEU: 51
; Occupancy: 4
; WaveLimiterHint : 1
; COMPUTE_PGM_RSRC2:SCRATCH_EN: 1
; COMPUTE_PGM_RSRC2:USER_SGPR: 8
; COMPUTE_PGM_RSRC2:TRAP_HANDLER: 0
; COMPUTE_PGM_RSRC2:TGID_X_EN: 1
; COMPUTE_PGM_RSRC2:TGID_Y_EN: 0
; COMPUTE_PGM_RSRC2:TGID_Z_EN: 1
; COMPUTE_PGM_RSRC2:TIDIG_COMP_CNT: 2
	.section	.text._ZN9rocsolver6v33100L16reset_batch_infoIdiiPdEEvT2_lT0_T1_,"axG",@progbits,_ZN9rocsolver6v33100L16reset_batch_infoIdiiPdEEvT2_lT0_T1_,comdat
	.globl	_ZN9rocsolver6v33100L16reset_batch_infoIdiiPdEEvT2_lT0_T1_ ; -- Begin function _ZN9rocsolver6v33100L16reset_batch_infoIdiiPdEEvT2_lT0_T1_
	.p2align	8
	.type	_ZN9rocsolver6v33100L16reset_batch_infoIdiiPdEEvT2_lT0_T1_,@function
_ZN9rocsolver6v33100L16reset_batch_infoIdiiPdEEvT2_lT0_T1_: ; @_ZN9rocsolver6v33100L16reset_batch_infoIdiiPdEEvT2_lT0_T1_
; %bb.0:
	s_load_dword s2, s[4:5], 0x24
	s_load_dwordx2 s[0:1], s[4:5], 0x10
	s_waitcnt lgkmcnt(0)
	s_and_b32 s2, s2, 0xffff
	s_mul_i32 s6, s6, s2
	v_add_u32_e32 v0, s6, v0
	v_cmp_gt_i32_e32 vcc, s0, v0
	s_and_saveexec_b64 s[2:3], vcc
	s_cbranch_execz .LBB14_2
; %bb.1:
	s_load_dwordx4 s[8:11], s[4:5], 0x0
	s_ashr_i32 s0, s7, 31
	v_ashrrev_i32_e32 v1, 31, v0
	v_lshlrev_b64 v[0:1], 3, v[0:1]
	v_cvt_f64_i32_e32 v[2:3], s1
	s_waitcnt lgkmcnt(0)
	s_mul_hi_u32 s3, s10, s7
	s_mul_i32 s0, s10, s0
	s_mul_i32 s4, s11, s7
	s_add_i32 s0, s3, s0
	s_mul_i32 s2, s10, s7
	s_add_i32 s3, s0, s4
	s_lshl_b64 s[2:3], s[2:3], 3
	s_add_u32 s0, s8, s2
	s_addc_u32 s2, s9, s3
	v_mov_b32_e32 v4, s2
	v_add_co_u32_e32 v0, vcc, s0, v0
	v_addc_co_u32_e32 v1, vcc, v4, v1, vcc
	global_store_dwordx2 v[0:1], v[2:3], off
.LBB14_2:
	s_endpgm
	.section	.rodata,"a",@progbits
	.p2align	6, 0x0
	.amdhsa_kernel _ZN9rocsolver6v33100L16reset_batch_infoIdiiPdEEvT2_lT0_T1_
		.amdhsa_group_segment_fixed_size 0
		.amdhsa_private_segment_fixed_size 0
		.amdhsa_kernarg_size 280
		.amdhsa_user_sgpr_count 6
		.amdhsa_user_sgpr_private_segment_buffer 1
		.amdhsa_user_sgpr_dispatch_ptr 0
		.amdhsa_user_sgpr_queue_ptr 0
		.amdhsa_user_sgpr_kernarg_segment_ptr 1
		.amdhsa_user_sgpr_dispatch_id 0
		.amdhsa_user_sgpr_flat_scratch_init 0
		.amdhsa_user_sgpr_private_segment_size 0
		.amdhsa_uses_dynamic_stack 0
		.amdhsa_system_sgpr_private_segment_wavefront_offset 0
		.amdhsa_system_sgpr_workgroup_id_x 1
		.amdhsa_system_sgpr_workgroup_id_y 1
		.amdhsa_system_sgpr_workgroup_id_z 0
		.amdhsa_system_sgpr_workgroup_info 0
		.amdhsa_system_vgpr_workitem_id 0
		.amdhsa_next_free_vgpr 5
		.amdhsa_next_free_sgpr 12
		.amdhsa_reserve_vcc 1
		.amdhsa_reserve_flat_scratch 0
		.amdhsa_float_round_mode_32 0
		.amdhsa_float_round_mode_16_64 0
		.amdhsa_float_denorm_mode_32 3
		.amdhsa_float_denorm_mode_16_64 3
		.amdhsa_dx10_clamp 1
		.amdhsa_ieee_mode 1
		.amdhsa_fp16_overflow 0
		.amdhsa_exception_fp_ieee_invalid_op 0
		.amdhsa_exception_fp_denorm_src 0
		.amdhsa_exception_fp_ieee_div_zero 0
		.amdhsa_exception_fp_ieee_overflow 0
		.amdhsa_exception_fp_ieee_underflow 0
		.amdhsa_exception_fp_ieee_inexact 0
		.amdhsa_exception_int_div_zero 0
	.end_amdhsa_kernel
	.section	.text._ZN9rocsolver6v33100L16reset_batch_infoIdiiPdEEvT2_lT0_T1_,"axG",@progbits,_ZN9rocsolver6v33100L16reset_batch_infoIdiiPdEEvT2_lT0_T1_,comdat
.Lfunc_end14:
	.size	_ZN9rocsolver6v33100L16reset_batch_infoIdiiPdEEvT2_lT0_T1_, .Lfunc_end14-_ZN9rocsolver6v33100L16reset_batch_infoIdiiPdEEvT2_lT0_T1_
                                        ; -- End function
	.set _ZN9rocsolver6v33100L16reset_batch_infoIdiiPdEEvT2_lT0_T1_.num_vgpr, 5
	.set _ZN9rocsolver6v33100L16reset_batch_infoIdiiPdEEvT2_lT0_T1_.num_agpr, 0
	.set _ZN9rocsolver6v33100L16reset_batch_infoIdiiPdEEvT2_lT0_T1_.numbered_sgpr, 12
	.set _ZN9rocsolver6v33100L16reset_batch_infoIdiiPdEEvT2_lT0_T1_.num_named_barrier, 0
	.set _ZN9rocsolver6v33100L16reset_batch_infoIdiiPdEEvT2_lT0_T1_.private_seg_size, 0
	.set _ZN9rocsolver6v33100L16reset_batch_infoIdiiPdEEvT2_lT0_T1_.uses_vcc, 1
	.set _ZN9rocsolver6v33100L16reset_batch_infoIdiiPdEEvT2_lT0_T1_.uses_flat_scratch, 0
	.set _ZN9rocsolver6v33100L16reset_batch_infoIdiiPdEEvT2_lT0_T1_.has_dyn_sized_stack, 0
	.set _ZN9rocsolver6v33100L16reset_batch_infoIdiiPdEEvT2_lT0_T1_.has_recursion, 0
	.set _ZN9rocsolver6v33100L16reset_batch_infoIdiiPdEEvT2_lT0_T1_.has_indirect_call, 0
	.section	.AMDGPU.csdata,"",@progbits
; Kernel info:
; codeLenInByte = 140
; TotalNumSgprs: 16
; NumVgprs: 5
; ScratchSize: 0
; MemoryBound: 0
; FloatMode: 240
; IeeeMode: 1
; LDSByteSize: 0 bytes/workgroup (compile time only)
; SGPRBlocks: 1
; VGPRBlocks: 1
; NumSGPRsForWavesPerEU: 16
; NumVGPRsForWavesPerEU: 5
; Occupancy: 10
; WaveLimiterHint : 0
; COMPUTE_PGM_RSRC2:SCRATCH_EN: 0
; COMPUTE_PGM_RSRC2:USER_SGPR: 6
; COMPUTE_PGM_RSRC2:TRAP_HANDLER: 0
; COMPUTE_PGM_RSRC2:TGID_X_EN: 1
; COMPUTE_PGM_RSRC2:TGID_Y_EN: 1
; COMPUTE_PGM_RSRC2:TGID_Z_EN: 0
; COMPUTE_PGM_RSRC2:TIDIG_COMP_CNT: 0
	.section	.text._ZN9rocsolver6v33100L10init_identIdPdEEviiT0_iil,"axG",@progbits,_ZN9rocsolver6v33100L10init_identIdPdEEviiT0_iil,comdat
	.globl	_ZN9rocsolver6v33100L10init_identIdPdEEviiT0_iil ; -- Begin function _ZN9rocsolver6v33100L10init_identIdPdEEviiT0_iil
	.p2align	8
	.type	_ZN9rocsolver6v33100L10init_identIdPdEEviiT0_iil,@function
_ZN9rocsolver6v33100L10init_identIdPdEEviiT0_iil: ; @_ZN9rocsolver6v33100L10init_identIdPdEEviiT0_iil
; %bb.0:
	s_load_dword s2, s[4:5], 0x2c
	s_load_dwordx2 s[0:1], s[4:5], 0x0
	s_waitcnt lgkmcnt(0)
	s_lshr_b32 s3, s2, 16
	s_and_b32 s2, s2, 0xffff
	s_mul_i32 s6, s6, s2
	s_mul_i32 s7, s7, s3
	v_add_u32_e32 v4, s6, v0
	v_add_u32_e32 v1, s7, v1
	v_cmp_gt_u32_e32 vcc, s0, v4
	v_cmp_gt_u32_e64 s[0:1], s1, v1
	s_and_b64 s[0:1], vcc, s[0:1]
	s_and_saveexec_b64 s[2:3], s[0:1]
	s_cbranch_execz .LBB15_6
; %bb.1:
	s_load_dwordx2 s[0:1], s[4:5], 0x10
	v_cmp_ne_u32_e32 vcc, v4, v1
                                        ; implicit-def: $vgpr0
	s_and_saveexec_b64 s[2:3], vcc
	s_xor_b64 s[2:3], exec, s[2:3]
	s_cbranch_execz .LBB15_3
; %bb.2:
	s_waitcnt lgkmcnt(0)
	v_mad_u64_u32 v[0:1], s[6:7], v1, s1, v[4:5]
                                        ; implicit-def: $vgpr4
.LBB15_3:
	s_or_saveexec_b64 s[2:3], s[2:3]
	v_mov_b32_e32 v2, 0
	v_mov_b32_e32 v3, 0
	s_xor_b64 exec, exec, s[2:3]
	s_cbranch_execz .LBB15_5
; %bb.4:
	s_waitcnt lgkmcnt(0)
	v_mad_u64_u32 v[0:1], s[6:7], v4, s1, v[4:5]
	v_mov_b32_e32 v2, 0
	v_mov_b32_e32 v3, 0x3ff00000
.LBB15_5:
	s_or_b64 exec, exec, s[2:3]
	s_load_dwordx2 s[2:3], s[4:5], 0x18
	s_load_dwordx2 s[6:7], s[4:5], 0x8
	s_waitcnt lgkmcnt(0)
	s_ashr_i32 s1, s0, 31
	v_mov_b32_e32 v1, 0
	v_lshlrev_b64 v[0:1], 3, v[0:1]
	s_mul_i32 s3, s3, s8
	s_mul_hi_u32 s4, s2, s8
	s_mul_i32 s2, s2, s8
	s_add_i32 s3, s4, s3
	s_lshl_b64 s[2:3], s[2:3], 3
	s_add_u32 s2, s6, s2
	s_addc_u32 s3, s7, s3
	s_lshl_b64 s[0:1], s[0:1], 3
	s_add_u32 s0, s2, s0
	s_addc_u32 s1, s3, s1
	v_mov_b32_e32 v4, s1
	v_add_co_u32_e32 v0, vcc, s0, v0
	v_addc_co_u32_e32 v1, vcc, v4, v1, vcc
	global_store_dwordx2 v[0:1], v[2:3], off
.LBB15_6:
	s_endpgm
	.section	.rodata,"a",@progbits
	.p2align	6, 0x0
	.amdhsa_kernel _ZN9rocsolver6v33100L10init_identIdPdEEviiT0_iil
		.amdhsa_group_segment_fixed_size 0
		.amdhsa_private_segment_fixed_size 0
		.amdhsa_kernarg_size 288
		.amdhsa_user_sgpr_count 6
		.amdhsa_user_sgpr_private_segment_buffer 1
		.amdhsa_user_sgpr_dispatch_ptr 0
		.amdhsa_user_sgpr_queue_ptr 0
		.amdhsa_user_sgpr_kernarg_segment_ptr 1
		.amdhsa_user_sgpr_dispatch_id 0
		.amdhsa_user_sgpr_flat_scratch_init 0
		.amdhsa_user_sgpr_private_segment_size 0
		.amdhsa_uses_dynamic_stack 0
		.amdhsa_system_sgpr_private_segment_wavefront_offset 0
		.amdhsa_system_sgpr_workgroup_id_x 1
		.amdhsa_system_sgpr_workgroup_id_y 1
		.amdhsa_system_sgpr_workgroup_id_z 1
		.amdhsa_system_sgpr_workgroup_info 0
		.amdhsa_system_vgpr_workitem_id 1
		.amdhsa_next_free_vgpr 6
		.amdhsa_next_free_sgpr 9
		.amdhsa_reserve_vcc 1
		.amdhsa_reserve_flat_scratch 0
		.amdhsa_float_round_mode_32 0
		.amdhsa_float_round_mode_16_64 0
		.amdhsa_float_denorm_mode_32 3
		.amdhsa_float_denorm_mode_16_64 3
		.amdhsa_dx10_clamp 1
		.amdhsa_ieee_mode 1
		.amdhsa_fp16_overflow 0
		.amdhsa_exception_fp_ieee_invalid_op 0
		.amdhsa_exception_fp_denorm_src 0
		.amdhsa_exception_fp_ieee_div_zero 0
		.amdhsa_exception_fp_ieee_overflow 0
		.amdhsa_exception_fp_ieee_underflow 0
		.amdhsa_exception_fp_ieee_inexact 0
		.amdhsa_exception_int_div_zero 0
	.end_amdhsa_kernel
	.section	.text._ZN9rocsolver6v33100L10init_identIdPdEEviiT0_iil,"axG",@progbits,_ZN9rocsolver6v33100L10init_identIdPdEEviiT0_iil,comdat
.Lfunc_end15:
	.size	_ZN9rocsolver6v33100L10init_identIdPdEEviiT0_iil, .Lfunc_end15-_ZN9rocsolver6v33100L10init_identIdPdEEviiT0_iil
                                        ; -- End function
	.set _ZN9rocsolver6v33100L10init_identIdPdEEviiT0_iil.num_vgpr, 6
	.set _ZN9rocsolver6v33100L10init_identIdPdEEviiT0_iil.num_agpr, 0
	.set _ZN9rocsolver6v33100L10init_identIdPdEEviiT0_iil.numbered_sgpr, 9
	.set _ZN9rocsolver6v33100L10init_identIdPdEEviiT0_iil.num_named_barrier, 0
	.set _ZN9rocsolver6v33100L10init_identIdPdEEviiT0_iil.private_seg_size, 0
	.set _ZN9rocsolver6v33100L10init_identIdPdEEviiT0_iil.uses_vcc, 1
	.set _ZN9rocsolver6v33100L10init_identIdPdEEviiT0_iil.uses_flat_scratch, 0
	.set _ZN9rocsolver6v33100L10init_identIdPdEEviiT0_iil.has_dyn_sized_stack, 0
	.set _ZN9rocsolver6v33100L10init_identIdPdEEviiT0_iil.has_recursion, 0
	.set _ZN9rocsolver6v33100L10init_identIdPdEEviiT0_iil.has_indirect_call, 0
	.section	.AMDGPU.csdata,"",@progbits
; Kernel info:
; codeLenInByte = 256
; TotalNumSgprs: 13
; NumVgprs: 6
; ScratchSize: 0
; MemoryBound: 0
; FloatMode: 240
; IeeeMode: 1
; LDSByteSize: 0 bytes/workgroup (compile time only)
; SGPRBlocks: 1
; VGPRBlocks: 1
; NumSGPRsForWavesPerEU: 13
; NumVGPRsForWavesPerEU: 6
; Occupancy: 10
; WaveLimiterHint : 0
; COMPUTE_PGM_RSRC2:SCRATCH_EN: 0
; COMPUTE_PGM_RSRC2:USER_SGPR: 6
; COMPUTE_PGM_RSRC2:TRAP_HANDLER: 0
; COMPUTE_PGM_RSRC2:TGID_X_EN: 1
; COMPUTE_PGM_RSRC2:TGID_Y_EN: 1
; COMPUTE_PGM_RSRC2:TGID_Z_EN: 1
; COMPUTE_PGM_RSRC2:TIDIG_COMP_CNT: 1
	.section	.text._ZN9rocsolver6v33100L12stedcj_splitIdEEviPT_lS3_lPiS2_,"axG",@progbits,_ZN9rocsolver6v33100L12stedcj_splitIdEEviPT_lS3_lPiS2_,comdat
	.globl	_ZN9rocsolver6v33100L12stedcj_splitIdEEviPT_lS3_lPiS2_ ; -- Begin function _ZN9rocsolver6v33100L12stedcj_splitIdEEviPT_lS3_lPiS2_
	.p2align	8
	.type	_ZN9rocsolver6v33100L12stedcj_splitIdEEviPT_lS3_lPiS2_,@function
_ZN9rocsolver6v33100L12stedcj_splitIdEEviPT_lS3_lPiS2_: ; @_ZN9rocsolver6v33100L12stedcj_splitIdEEviPT_lS3_lPiS2_
; %bb.0:
	s_load_dword s8, s[4:5], 0x0
	s_load_dwordx4 s[0:3], s[4:5], 0x28
	v_mov_b32_e32 v0, 0
	s_waitcnt lgkmcnt(0)
	s_mul_i32 s7, s8, 5
	s_add_i32 s7, s7, 2
	s_mul_i32 s10, s7, s6
	s_ashr_i32 s11, s10, 31
	s_lshl_b64 s[10:11], s[10:11], 2
	s_add_u32 s0, s0, s10
	s_addc_u32 s1, s1, s11
	s_cmp_lt_i32 s8, 1
	s_mov_b32 s10, 1
	global_store_dword v0, v0, s[0:1]
	s_cbranch_scc1 .LBB16_13
; %bb.1:
	s_load_dwordx8 s[12:19], s[4:5], 0x8
	s_ashr_i32 s7, s6, 31
	v_mov_b32_e32 v1, 0x260
	s_waitcnt lgkmcnt(0)
	s_mul_hi_u32 s5, s14, s6
	s_mul_i32 s9, s14, s7
	s_mul_i32 s10, s15, s6
	s_add_i32 s5, s5, s9
	s_mul_i32 s4, s14, s6
	s_add_i32 s5, s5, s10
	s_lshl_b64 s[4:5], s[4:5], 3
	s_add_u32 s9, s12, s4
	s_addc_u32 s22, s13, s5
	s_add_i32 s23, s8, -1
	s_add_u32 s24, s9, 8
	s_mul_hi_u32 s4, s18, s6
	s_mul_i32 s5, s18, s7
	s_addc_u32 s25, s22, 0
	s_add_i32 s4, s4, s5
	s_mul_i32 s5, s19, s6
	s_add_i32 s5, s4, s5
	s_mul_i32 s4, s18, s6
	s_lshl_b64 s[4:5], s[4:5], 3
	s_add_u32 s26, s16, s4
	s_addc_u32 s27, s17, s5
	s_mov_b32 s5, 0
	s_mov_b32 s6, 0
	;; [unrolled: 1-line block ×3, first 2 shown]
	s_brev_b32 s7, 8
	s_mov_b32 s4, s5
	s_branch .LBB16_4
.LBB16_2:                               ;   in Loop: Header=BB16_4 Depth=1
	s_mov_b32 s28, 1
.LBB16_3:                               ;   in Loop: Header=BB16_4 Depth=1
	s_add_i32 s4, s28, s4
	s_cmp_lt_i32 s4, s8
	s_cbranch_scc0 .LBB16_13
.LBB16_4:                               ; =>This Loop Header: Depth=1
                                        ;     Child Loop BB16_6 Depth 2
	s_cmp_ge_i32 s4, s23
	s_cbranch_scc1 .LBB16_2
; %bb.5:                                ;   in Loop: Header=BB16_4 Depth=1
	s_lshl_b64 s[14:15], s[4:5], 3
	s_add_u32 s12, s9, s14
	s_addc_u32 s13, s22, s15
	s_load_dwordx2 s[16:17], s[12:13], 0x0
	s_add_u32 s12, s24, s14
	s_addc_u32 s13, s25, s15
	s_add_u32 s14, s26, s14
	s_addc_u32 s15, s27, s15
	s_mov_b32 s11, 0
.LBB16_6:                               ;   Parent Loop BB16_4 Depth=1
                                        ; =>  This Inner Loop Header: Depth=2
	v_mov_b32_e32 v2, s6
	v_mov_b32_e32 v3, s7
	s_waitcnt lgkmcnt(0)
	v_cmp_lt_f64_e64 s[18:19], |s[16:17]|, v[2:3]
	s_add_i32 s28, s11, 1
                                        ; implicit-def: $sgpr29
	s_and_b64 s[18:19], s[18:19], exec
	s_cselect_b32 s18, 0x100, 0
	v_mov_b32_e32 v4, s18
	v_ldexp_f64 v[4:5], |s[16:17]|, v4
	s_load_dwordx2 s[16:17], s[12:13], 0x0
	s_cselect_b32 s20, 0xffffff80, 0
	s_waitcnt lgkmcnt(0)
	v_cmp_lt_f64_e64 s[18:19], |s[16:17]|, v[2:3]
	v_rsq_f64_e32 v[2:3], v[4:5]
	v_cmp_class_f64_e32 vcc, v[4:5], v1
	s_and_b64 s[18:19], s[18:19], exec
	s_cselect_b32 s18, 0x100, 0
	v_mov_b32_e32 v6, s18
	v_ldexp_f64 v[6:7], |s[16:17]|, v6
	s_cselect_b32 s18, 0xffffff80, 0
	v_mul_f64 v[10:11], v[4:5], v[2:3]
	v_rsq_f64_e32 v[8:9], v[6:7]
	v_mul_f64 v[2:3], v[2:3], 0.5
	v_fma_f64 v[12:13], -v[2:3], v[10:11], 0.5
	v_mul_f64 v[14:15], v[6:7], v[8:9]
	v_mul_f64 v[8:9], v[8:9], 0.5
	v_fma_f64 v[10:11], v[10:11], v[12:13], v[10:11]
	v_fma_f64 v[2:3], v[2:3], v[12:13], v[2:3]
	v_fma_f64 v[16:17], -v[8:9], v[14:15], 0.5
	v_fma_f64 v[12:13], -v[10:11], v[10:11], v[4:5]
	v_fma_f64 v[14:15], v[14:15], v[16:17], v[14:15]
	v_fma_f64 v[10:11], v[12:13], v[2:3], v[10:11]
	;; [unrolled: 1-line block ×3, first 2 shown]
	v_fma_f64 v[12:13], -v[14:15], v[14:15], v[6:7]
	v_fma_f64 v[16:17], -v[10:11], v[10:11], v[4:5]
	v_fma_f64 v[12:13], v[12:13], v[8:9], v[14:15]
	v_fma_f64 v[2:3], v[16:17], v[2:3], v[10:11]
	v_fma_f64 v[10:11], -v[12:13], v[12:13], v[6:7]
	v_ldexp_f64 v[2:3], v[2:3], s20
	v_fma_f64 v[8:9], v[10:11], v[8:9], v[12:13]
	v_cndmask_b32_e32 v3, v3, v5, vcc
	v_cndmask_b32_e32 v2, v2, v4, vcc
	v_cmp_class_f64_e32 vcc, v[6:7], v1
	v_mul_f64 v[2:3], s[2:3], v[2:3]
	v_ldexp_f64 v[4:5], v[8:9], s18
	s_load_dwordx2 s[18:19], s[14:15], 0x0
	v_cndmask_b32_e32 v5, v5, v7, vcc
	v_cndmask_b32_e32 v4, v4, v6, vcc
	v_mul_f64 v[2:3], v[2:3], v[4:5]
	s_waitcnt lgkmcnt(0)
	v_cmp_nlt_f64_e64 s[20:21], |s[18:19]|, v[2:3]
	s_mov_b64 s[18:19], -1
	s_and_b64 vcc, exec, s[20:21]
	s_mov_b64 s[20:21], -1
	s_cbranch_vccz .LBB16_8
; %bb.7:                                ;   in Loop: Header=BB16_6 Depth=2
	s_add_i32 s18, s4, s28
	s_add_u32 s12, s12, 8
	s_addc_u32 s13, s13, 0
	s_add_u32 s14, s14, 8
	s_addc_u32 s15, s15, 0
	s_cmp_ge_i32 s18, s23
	s_cselect_b64 s[20:21], -1, 0
	s_add_i32 s29, s28, 1
	s_mov_b64 s[18:19], 0
.LBB16_8:                               ;   in Loop: Header=BB16_6 Depth=2
	s_andn2_b64 vcc, exec, s[20:21]
	s_cbranch_vccz .LBB16_10
; %bb.9:                                ;   in Loop: Header=BB16_6 Depth=2
	s_mov_b32 s11, s28
	s_branch .LBB16_6
.LBB16_10:                              ;   in Loop: Header=BB16_4 Depth=1
	s_and_b64 vcc, exec, s[18:19]
	s_cbranch_vccz .LBB16_12
; %bb.11:                               ;   in Loop: Header=BB16_4 Depth=1
	s_add_i32 s11, s4, s11
	s_add_i32 s14, s11, 1
	s_ashr_i32 s11, s10, 31
	s_lshl_b64 s[12:13], s[10:11], 2
	s_add_u32 s12, s0, s12
	s_addc_u32 s13, s1, s13
	v_mov_b32_e32 v2, s14
	s_add_i32 s10, s10, 1
	global_store_dword v0, v2, s[12:13]
	s_branch .LBB16_3
.LBB16_12:                              ;   in Loop: Header=BB16_4 Depth=1
	s_mov_b32 s28, s29
	s_branch .LBB16_3
.LBB16_13:
	s_ashr_i32 s11, s10, 31
	s_lshl_b64 s[2:3], s[10:11], 2
	s_add_u32 s2, s0, s2
	s_addc_u32 s3, s1, s3
	v_mov_b32_e32 v0, 0
	v_mov_b32_e32 v1, s8
	s_ashr_i32 s9, s8, 31
	global_store_dword v0, v1, s[2:3]
	s_lshl_b64 s[2:3], s[8:9], 2
	s_add_u32 s0, s0, s2
	s_addc_u32 s1, s1, s3
	v_mov_b32_e32 v1, s10
	global_store_dword v0, v1, s[0:1] offset:4
	s_endpgm
	.section	.rodata,"a",@progbits
	.p2align	6, 0x0
	.amdhsa_kernel _ZN9rocsolver6v33100L12stedcj_splitIdEEviPT_lS3_lPiS2_
		.amdhsa_group_segment_fixed_size 0
		.amdhsa_private_segment_fixed_size 0
		.amdhsa_kernarg_size 56
		.amdhsa_user_sgpr_count 6
		.amdhsa_user_sgpr_private_segment_buffer 1
		.amdhsa_user_sgpr_dispatch_ptr 0
		.amdhsa_user_sgpr_queue_ptr 0
		.amdhsa_user_sgpr_kernarg_segment_ptr 1
		.amdhsa_user_sgpr_dispatch_id 0
		.amdhsa_user_sgpr_flat_scratch_init 0
		.amdhsa_user_sgpr_private_segment_size 0
		.amdhsa_uses_dynamic_stack 0
		.amdhsa_system_sgpr_private_segment_wavefront_offset 0
		.amdhsa_system_sgpr_workgroup_id_x 1
		.amdhsa_system_sgpr_workgroup_id_y 0
		.amdhsa_system_sgpr_workgroup_id_z 0
		.amdhsa_system_sgpr_workgroup_info 0
		.amdhsa_system_vgpr_workitem_id 0
		.amdhsa_next_free_vgpr 18
		.amdhsa_next_free_sgpr 30
		.amdhsa_reserve_vcc 1
		.amdhsa_reserve_flat_scratch 0
		.amdhsa_float_round_mode_32 0
		.amdhsa_float_round_mode_16_64 0
		.amdhsa_float_denorm_mode_32 3
		.amdhsa_float_denorm_mode_16_64 3
		.amdhsa_dx10_clamp 1
		.amdhsa_ieee_mode 1
		.amdhsa_fp16_overflow 0
		.amdhsa_exception_fp_ieee_invalid_op 0
		.amdhsa_exception_fp_denorm_src 0
		.amdhsa_exception_fp_ieee_div_zero 0
		.amdhsa_exception_fp_ieee_overflow 0
		.amdhsa_exception_fp_ieee_underflow 0
		.amdhsa_exception_fp_ieee_inexact 0
		.amdhsa_exception_int_div_zero 0
	.end_amdhsa_kernel
	.section	.text._ZN9rocsolver6v33100L12stedcj_splitIdEEviPT_lS3_lPiS2_,"axG",@progbits,_ZN9rocsolver6v33100L12stedcj_splitIdEEviPT_lS3_lPiS2_,comdat
.Lfunc_end16:
	.size	_ZN9rocsolver6v33100L12stedcj_splitIdEEviPT_lS3_lPiS2_, .Lfunc_end16-_ZN9rocsolver6v33100L12stedcj_splitIdEEviPT_lS3_lPiS2_
                                        ; -- End function
	.set _ZN9rocsolver6v33100L12stedcj_splitIdEEviPT_lS3_lPiS2_.num_vgpr, 18
	.set _ZN9rocsolver6v33100L12stedcj_splitIdEEviPT_lS3_lPiS2_.num_agpr, 0
	.set _ZN9rocsolver6v33100L12stedcj_splitIdEEviPT_lS3_lPiS2_.numbered_sgpr, 30
	.set _ZN9rocsolver6v33100L12stedcj_splitIdEEviPT_lS3_lPiS2_.num_named_barrier, 0
	.set _ZN9rocsolver6v33100L12stedcj_splitIdEEviPT_lS3_lPiS2_.private_seg_size, 0
	.set _ZN9rocsolver6v33100L12stedcj_splitIdEEviPT_lS3_lPiS2_.uses_vcc, 1
	.set _ZN9rocsolver6v33100L12stedcj_splitIdEEviPT_lS3_lPiS2_.uses_flat_scratch, 0
	.set _ZN9rocsolver6v33100L12stedcj_splitIdEEviPT_lS3_lPiS2_.has_dyn_sized_stack, 0
	.set _ZN9rocsolver6v33100L12stedcj_splitIdEEviPT_lS3_lPiS2_.has_recursion, 0
	.set _ZN9rocsolver6v33100L12stedcj_splitIdEEviPT_lS3_lPiS2_.has_indirect_call, 0
	.section	.AMDGPU.csdata,"",@progbits
; Kernel info:
; codeLenInByte = 796
; TotalNumSgprs: 34
; NumVgprs: 18
; ScratchSize: 0
; MemoryBound: 0
; FloatMode: 240
; IeeeMode: 1
; LDSByteSize: 0 bytes/workgroup (compile time only)
; SGPRBlocks: 4
; VGPRBlocks: 4
; NumSGPRsForWavesPerEU: 34
; NumVGPRsForWavesPerEU: 18
; Occupancy: 10
; WaveLimiterHint : 0
; COMPUTE_PGM_RSRC2:SCRATCH_EN: 0
; COMPUTE_PGM_RSRC2:USER_SGPR: 6
; COMPUTE_PGM_RSRC2:TRAP_HANDLER: 0
; COMPUTE_PGM_RSRC2:TGID_X_EN: 1
; COMPUTE_PGM_RSRC2:TGID_Y_EN: 0
; COMPUTE_PGM_RSRC2:TGID_Z_EN: 0
; COMPUTE_PGM_RSRC2:TIDIG_COMP_CNT: 0
	.section	.text._ZN9rocsolver6v33100L20stedcj_divide_kernelIdEEviPT_lS3_lPi,"axG",@progbits,_ZN9rocsolver6v33100L20stedcj_divide_kernelIdEEviPT_lS3_lPi,comdat
	.globl	_ZN9rocsolver6v33100L20stedcj_divide_kernelIdEEviPT_lS3_lPi ; -- Begin function _ZN9rocsolver6v33100L20stedcj_divide_kernelIdEEviPT_lS3_lPi
	.p2align	8
	.type	_ZN9rocsolver6v33100L20stedcj_divide_kernelIdEEviPT_lS3_lPi,@function
_ZN9rocsolver6v33100L20stedcj_divide_kernelIdEEviPT_lS3_lPi: ; @_ZN9rocsolver6v33100L20stedcj_divide_kernelIdEEviPT_lS3_lPi
; %bb.0:
	s_load_dword s8, s[4:5], 0x0
	s_load_dwordx2 s[2:3], s[4:5], 0x28
	s_waitcnt lgkmcnt(0)
	s_mul_i32 s0, s8, 5
	s_add_i32 s0, s0, 2
	s_mul_i32 s0, s0, s6
	s_ashr_i32 s1, s0, 31
	s_ashr_i32 s9, s8, 31
	s_lshl_b64 s[10:11], s[0:1], 2
	s_add_u32 s14, s2, s10
	s_addc_u32 s7, s3, s11
	s_lshl_b64 s[12:13], s[8:9], 2
	s_add_u32 s0, s14, s12
	s_addc_u32 s1, s7, s13
	s_load_dword s15, s[0:1], 0x4
	s_waitcnt lgkmcnt(0)
	v_cmp_gt_i32_e32 vcc, s15, v0
	s_and_saveexec_b64 s[16:17], vcc
	s_cbranch_execz .LBB17_21
; %bb.1:
	s_load_dwordx8 s[16:23], s[4:5], 0x8
	s_ashr_i32 s24, s6, 31
	v_mov_b32_e32 v1, 0
	v_mov_b32_e32 v11, s7
	s_movk_i32 s27, 0xe8
	s_waitcnt lgkmcnt(0)
	s_mul_hi_u32 s5, s18, s6
	s_mul_i32 s25, s18, s24
	s_mul_i32 s19, s19, s6
	s_add_i32 s5, s5, s25
	s_mul_i32 s4, s18, s6
	s_add_i32 s5, s5, s19
	s_lshl_b64 s[4:5], s[4:5], 3
	s_add_u32 s16, s16, s4
	s_addc_u32 s17, s17, s5
	s_mul_hi_u32 s4, s22, s6
	s_mul_i32 s5, s22, s24
	s_add_i32 s4, s4, s5
	s_mul_i32 s5, s23, s6
	s_add_i32 s5, s4, s5
	s_mul_i32 s4, s22, s6
	s_lshl_b64 s[4:5], s[4:5], 3
	s_add_u32 s18, s20, s4
	s_addc_u32 s19, s21, s5
	s_add_u32 s20, s0, s12
	s_addc_u32 s6, s1, s13
	;; [unrolled: 2-line block ×5, first 2 shown]
	s_lshl_b64 s[4:5], s[8:9], 3
	s_add_u32 s4, s4, s10
	s_addc_u32 s5, s5, s11
	s_add_u32 s2, s2, s4
	s_addc_u32 s3, s3, s5
	;; [unrolled: 2-line block ×4, first 2 shown]
	s_mov_b64 s[2:3], 0
	s_movk_i32 s28, 0x79b
	s_movk_i32 s29, 0x128
	v_mov_b32_e32 v12, s1
	v_mov_b32_e32 v13, s6
	s_mov_b32 s5, 0
	s_branch .LBB17_3
.LBB17_2:                               ;   in Loop: Header=BB17_3 Depth=1
	s_or_b64 exec, exec, s[6:7]
	v_add_u32_e32 v0, 0x200, v0
	v_cmp_le_i32_e32 vcc, s15, v0
	s_or_b64 s[2:3], vcc, s[2:3]
	s_andn2_b64 exec, exec, s[2:3]
	s_cbranch_execz .LBB17_21
.LBB17_3:                               ; =>This Loop Header: Depth=1
                                        ;     Child Loop BB17_13 Depth 2
                                        ;       Child Loop BB17_14 Depth 3
                                        ;     Child Loop BB17_17 Depth 2
	v_lshlrev_b64 v[2:3], 2, v[0:1]
	v_mov_b32_e32 v14, 0
	v_add_co_u32_e32 v2, vcc, s14, v2
	v_addc_co_u32_e32 v3, vcc, v11, v3, vcc
	global_load_dwordx2 v[2:3], v[2:3], off
	s_waitcnt vmcnt(0)
	v_sub_u32_e32 v9, v3, v2
	v_cmp_lt_i32_e32 vcc, 2, v9
	s_and_saveexec_b64 s[6:7], vcc
	s_cbranch_execz .LBB17_11
; %bb.4:                                ;   in Loop: Header=BB17_3 Depth=1
	v_cmp_lt_u32_e32 vcc, 4, v9
	v_mov_b32_e32 v14, 1
	s_and_saveexec_b64 s[8:9], vcc
	s_cbranch_execz .LBB17_10
; %bb.5:                                ;   in Loop: Header=BB17_3 Depth=1
	v_cmp_lt_u32_e32 vcc, 32, v9
	v_mov_b32_e32 v14, 2
	;; [unrolled: 5-line block ×3, first 2 shown]
	s_and_saveexec_b64 s[12:13], vcc
; %bb.7:                                ;   in Loop: Header=BB17_3 Depth=1
	v_cmp_gt_u32_e32 vcc, s29, v9
	v_cndmask_b32_e64 v3, 7, 5, vcc
	v_cmp_gt_u32_e32 vcc, s28, v9
	v_cndmask_b32_e32 v14, 8, v3, vcc
; %bb.8:                                ;   in Loop: Header=BB17_3 Depth=1
	s_or_b64 exec, exec, s[12:13]
.LBB17_9:                               ;   in Loop: Header=BB17_3 Depth=1
	s_or_b64 exec, exec, s[10:11]
.LBB17_10:                              ;   in Loop: Header=BB17_3 Depth=1
	s_or_b64 exec, exec, s[8:9]
.LBB17_11:                              ;   in Loop: Header=BB17_3 Depth=1
	s_or_b64 exec, exec, s[6:7]
	v_ashrrev_i32_e32 v3, 31, v2
	v_lshlrev_b64 v[3:4], 2, v[2:3]
	v_add_co_u32_e32 v7, vcc, s0, v3
	v_addc_co_u32_e32 v8, vcc, v12, v4, vcc
	v_add_co_u32_e32 v5, vcc, s20, v3
	v_addc_co_u32_e32 v6, vcc, v13, v4, vcc
	v_cmp_ne_u32_e32 vcc, 0, v14
	global_store_dword v[7:8], v9, off offset:8
	s_and_saveexec_b64 s[6:7], vcc
	s_xor_b64 s[6:7], exec, s[6:7]
	s_cbranch_execz .LBB17_19
; %bb.12:                               ;   in Loop: Header=BB17_3 Depth=1
	v_mov_b32_e32 v9, s22
	v_add_co_u32_e32 v15, vcc, s21, v3
	v_addc_co_u32_e32 v16, vcc, v9, v4, vcc
	s_mov_b32 s1, 0
	s_mov_b64 s[8:9], 0
.LBB17_13:                              ;   Parent Loop BB17_3 Depth=1
                                        ; =>  This Loop Header: Depth=2
                                        ;       Child Loop BB17_14 Depth 3
	s_lshl_b32 s4, 1, s1
	s_lshl_b64 s[12:13], s[4:5], 2
	v_mov_b32_e32 v10, s13
	v_add_co_u32_e32 v9, vcc, s12, v15
	s_add_i32 s10, s4, 1
	v_addc_co_u32_e32 v10, vcc, v16, v10, vcc
	s_lshl_b32 s4, s4, 1
.LBB17_14:                              ;   Parent Loop BB17_3 Depth=1
                                        ;     Parent Loop BB17_13 Depth=2
                                        ; =>    This Inner Loop Header: Depth=3
	global_load_dword v20, v[9:10], off
	v_add_co_u32_e32 v9, vcc, -4, v9
	s_lshl_b64 s[12:13], s[4:5], 2
	v_addc_co_u32_e32 v10, vcc, -1, v10, vcc
	v_mov_b32_e32 v18, s13
	v_add_co_u32_e32 v17, vcc, s12, v7
	v_addc_co_u32_e32 v18, vcc, v8, v18, vcc
	s_add_i32 s10, s10, -1
	s_add_i32 s4, s4, -2
	s_cmp_lt_u32 s10, 2
	s_waitcnt vmcnt(0)
	v_lshrrev_b32_e32 v19, 31, v20
	v_add_u32_e32 v21, v20, v19
	v_ashrrev_i32_e32 v19, 1, v21
	v_and_b32_e32 v21, -2, v21
	v_cmp_lt_i32_e32 vcc, v21, v20
	v_addc_co_u32_e32 v20, vcc, 0, v19, vcc
	global_store_dwordx2 v[17:18], v[19:20], off
	s_cbranch_scc0 .LBB17_14
; %bb.15:                               ;   in Loop: Header=BB17_13 Depth=2
	s_add_i32 s1, s1, 1
	v_cmp_eq_u32_e32 vcc, s1, v14
	s_or_b64 s[8:9], vcc, s[8:9]
	s_andn2_b64 exec, exec, s[8:9]
	s_cbranch_execnz .LBB17_13
; %bb.16:                               ;   in Loop: Header=BB17_3 Depth=1
	s_or_b64 exec, exec, s[8:9]
	global_store_dword v[5:6], v2, off offset:8
	v_mov_b32_e32 v6, s24
	v_add_co_u32_e32 v5, vcc, s23, v3
	v_addc_co_u32_e32 v6, vcc, v6, v4, vcc
	v_mov_b32_e32 v8, s26
	v_add_co_u32_e32 v7, vcc, s25, v3
	v_addc_co_u32_e32 v8, vcc, v8, v4, vcc
	s_mov_b32 s1, 2
	s_mov_b64 s[8:9], 0
.LBB17_17:                              ;   Parent Loop BB17_3 Depth=1
                                        ; =>  This Inner Loop Header: Depth=2
	global_load_dword v3, v[7:8], off
	v_mov_b32_e32 v10, s19
	v_mov_b32_e32 v15, s17
	s_waitcnt vmcnt(0)
	v_add_u32_e32 v2, v3, v2
	v_ashrrev_i32_e32 v3, 31, v2
	v_lshlrev_b64 v[3:4], 3, v[2:3]
	v_add_co_u32_e32 v9, vcc, s18, v3
	v_addc_co_u32_e32 v10, vcc, v10, v4, vcc
	v_add_co_u32_e32 v3, vcc, s16, v3
	v_addc_co_u32_e32 v4, vcc, v15, v4, vcc
	global_load_dwordx2 v[19:20], v[9:10], off offset:-8
	global_load_dwordx4 v[15:18], v[3:4], off offset:-8
	v_add_co_u32_e32 v7, vcc, 4, v7
	v_lshrrev_b32_e64 v9, v14, s1
	v_addc_co_u32_e32 v8, vcc, 0, v8, vcc
	s_add_i32 s1, s1, 1
	v_cmp_ne_u32_e32 vcc, 0, v9
	s_or_b64 s[8:9], vcc, s[8:9]
	global_store_dword v[5:6], v2, off
	v_add_co_u32_e32 v5, vcc, 4, v5
	v_addc_co_u32_e32 v6, vcc, 0, v6, vcc
	s_waitcnt vmcnt(1)
	v_add_f64 v[17:18], v[17:18], -v[19:20]
	v_add_f64 v[15:16], v[15:16], -v[19:20]
	global_store_dwordx4 v[3:4], v[15:18], off offset:-8
	s_andn2_b64 exec, exec, s[8:9]
	s_cbranch_execnz .LBB17_17
; %bb.18:                               ;   in Loop: Header=BB17_3 Depth=1
	s_or_b64 exec, exec, s[8:9]
                                        ; implicit-def: $vgpr5_vgpr6
                                        ; implicit-def: $vgpr2_vgpr3
.LBB17_19:                              ;   in Loop: Header=BB17_3 Depth=1
	s_andn2_saveexec_b64 s[6:7], s[6:7]
	s_cbranch_execz .LBB17_2
; %bb.20:                               ;   in Loop: Header=BB17_3 Depth=1
	global_store_dword v[5:6], v2, off offset:8
	s_branch .LBB17_2
.LBB17_21:
	s_endpgm
	.section	.rodata,"a",@progbits
	.p2align	6, 0x0
	.amdhsa_kernel _ZN9rocsolver6v33100L20stedcj_divide_kernelIdEEviPT_lS3_lPi
		.amdhsa_group_segment_fixed_size 0
		.amdhsa_private_segment_fixed_size 0
		.amdhsa_kernarg_size 48
		.amdhsa_user_sgpr_count 6
		.amdhsa_user_sgpr_private_segment_buffer 1
		.amdhsa_user_sgpr_dispatch_ptr 0
		.amdhsa_user_sgpr_queue_ptr 0
		.amdhsa_user_sgpr_kernarg_segment_ptr 1
		.amdhsa_user_sgpr_dispatch_id 0
		.amdhsa_user_sgpr_flat_scratch_init 0
		.amdhsa_user_sgpr_private_segment_size 0
		.amdhsa_uses_dynamic_stack 0
		.amdhsa_system_sgpr_private_segment_wavefront_offset 0
		.amdhsa_system_sgpr_workgroup_id_x 1
		.amdhsa_system_sgpr_workgroup_id_y 0
		.amdhsa_system_sgpr_workgroup_id_z 0
		.amdhsa_system_sgpr_workgroup_info 0
		.amdhsa_system_vgpr_workitem_id 0
		.amdhsa_next_free_vgpr 22
		.amdhsa_next_free_sgpr 30
		.amdhsa_reserve_vcc 1
		.amdhsa_reserve_flat_scratch 0
		.amdhsa_float_round_mode_32 0
		.amdhsa_float_round_mode_16_64 0
		.amdhsa_float_denorm_mode_32 3
		.amdhsa_float_denorm_mode_16_64 3
		.amdhsa_dx10_clamp 1
		.amdhsa_ieee_mode 1
		.amdhsa_fp16_overflow 0
		.amdhsa_exception_fp_ieee_invalid_op 0
		.amdhsa_exception_fp_denorm_src 0
		.amdhsa_exception_fp_ieee_div_zero 0
		.amdhsa_exception_fp_ieee_overflow 0
		.amdhsa_exception_fp_ieee_underflow 0
		.amdhsa_exception_fp_ieee_inexact 0
		.amdhsa_exception_int_div_zero 0
	.end_amdhsa_kernel
	.section	.text._ZN9rocsolver6v33100L20stedcj_divide_kernelIdEEviPT_lS3_lPi,"axG",@progbits,_ZN9rocsolver6v33100L20stedcj_divide_kernelIdEEviPT_lS3_lPi,comdat
.Lfunc_end17:
	.size	_ZN9rocsolver6v33100L20stedcj_divide_kernelIdEEviPT_lS3_lPi, .Lfunc_end17-_ZN9rocsolver6v33100L20stedcj_divide_kernelIdEEviPT_lS3_lPi
                                        ; -- End function
	.set _ZN9rocsolver6v33100L20stedcj_divide_kernelIdEEviPT_lS3_lPi.num_vgpr, 22
	.set _ZN9rocsolver6v33100L20stedcj_divide_kernelIdEEviPT_lS3_lPi.num_agpr, 0
	.set _ZN9rocsolver6v33100L20stedcj_divide_kernelIdEEviPT_lS3_lPi.numbered_sgpr, 30
	.set _ZN9rocsolver6v33100L20stedcj_divide_kernelIdEEviPT_lS3_lPi.num_named_barrier, 0
	.set _ZN9rocsolver6v33100L20stedcj_divide_kernelIdEEviPT_lS3_lPi.private_seg_size, 0
	.set _ZN9rocsolver6v33100L20stedcj_divide_kernelIdEEviPT_lS3_lPi.uses_vcc, 1
	.set _ZN9rocsolver6v33100L20stedcj_divide_kernelIdEEviPT_lS3_lPi.uses_flat_scratch, 0
	.set _ZN9rocsolver6v33100L20stedcj_divide_kernelIdEEviPT_lS3_lPi.has_dyn_sized_stack, 0
	.set _ZN9rocsolver6v33100L20stedcj_divide_kernelIdEEviPT_lS3_lPi.has_recursion, 0
	.set _ZN9rocsolver6v33100L20stedcj_divide_kernelIdEEviPT_lS3_lPi.has_indirect_call, 0
	.section	.AMDGPU.csdata,"",@progbits
; Kernel info:
; codeLenInByte = 864
; TotalNumSgprs: 34
; NumVgprs: 22
; ScratchSize: 0
; MemoryBound: 0
; FloatMode: 240
; IeeeMode: 1
; LDSByteSize: 0 bytes/workgroup (compile time only)
; SGPRBlocks: 4
; VGPRBlocks: 5
; NumSGPRsForWavesPerEU: 34
; NumVGPRsForWavesPerEU: 22
; Occupancy: 10
; WaveLimiterHint : 1
; COMPUTE_PGM_RSRC2:SCRATCH_EN: 0
; COMPUTE_PGM_RSRC2:USER_SGPR: 6
; COMPUTE_PGM_RSRC2:TRAP_HANDLER: 0
; COMPUTE_PGM_RSRC2:TGID_X_EN: 1
; COMPUTE_PGM_RSRC2:TGID_Y_EN: 0
; COMPUTE_PGM_RSRC2:TGID_Z_EN: 0
; COMPUTE_PGM_RSRC2:TIDIG_COMP_CNT: 0
	.section	.text._ZN9rocsolver6v33100L19stedcj_solve_kernelIdEEviPT_lS3_lS3_iilPiS3_S4_S2_S2_S2_,"axG",@progbits,_ZN9rocsolver6v33100L19stedcj_solve_kernelIdEEviPT_lS3_lS3_iilPiS3_S4_S2_S2_S2_,comdat
	.globl	_ZN9rocsolver6v33100L19stedcj_solve_kernelIdEEviPT_lS3_lS3_iilPiS3_S4_S2_S2_S2_ ; -- Begin function _ZN9rocsolver6v33100L19stedcj_solve_kernelIdEEviPT_lS3_lS3_iilPiS3_S4_S2_S2_S2_
	.p2align	8
	.type	_ZN9rocsolver6v33100L19stedcj_solve_kernelIdEEviPT_lS3_lS3_iilPiS3_S4_S2_S2_S2_,@function
_ZN9rocsolver6v33100L19stedcj_solve_kernelIdEEviPT_lS3_lS3_iilPiS3_S4_S2_S2_S2_: ; @_ZN9rocsolver6v33100L19stedcj_solve_kernelIdEEviPT_lS3_lS3_iilPiS3_S4_S2_S2_S2_
; %bb.0:
	s_load_dwordx4 s[28:31], s[4:5], 0x28
	s_load_dwordx8 s[12:19], s[4:5], 0x38
	s_load_dwordx2 s[0:1], s[4:5], 0x58
	s_mov_b32 s34, s7
	s_mov_b64 s[2:3], 0
	s_waitcnt lgkmcnt(0)
	s_cmp_lg_u64 s[28:29], 0
	s_cbranch_scc0 .LBB18_116
; %bb.1:
	s_ashr_i32 s9, s8, 31
	s_mul_hi_u32 s7, s12, s8
	s_mul_i32 s20, s12, s9
	s_add_i32 s7, s7, s20
	s_mul_i32 s13, s13, s8
	s_add_i32 s13, s7, s13
	s_mul_i32 s12, s12, s8
	s_ashr_i32 s11, s30, 31
	s_lshl_b64 s[12:13], s[12:13], 3
	s_mov_b32 s10, s30
	s_add_u32 s7, s28, s12
	s_addc_u32 s12, s29, s13
	s_lshl_b64 s[10:11], s[10:11], 3
	s_add_u32 s28, s7, s10
	s_addc_u32 s29, s12, s11
	s_andn2_b64 vcc, exec, s[2:3]
	s_cbranch_vccnz .LBB18_3
.LBB18_2:
	s_ashr_i32 s9, s8, 31
                                        ; implicit-def: $sgpr28_sgpr29
.LBB18_3:
	s_load_dword s36, s[4:5], 0x0
	s_waitcnt lgkmcnt(0)
	s_mul_i32 s2, s36, 5
	s_add_i32 s2, s2, 2
	s_mul_i32 s2, s2, s8
	s_ashr_i32 s3, s2, 31
	s_lshl_b64 s[2:3], s[2:3], 2
	s_add_u32 s30, s18, s2
	s_addc_u32 s33, s19, s3
	s_ashr_i32 s37, s36, 31
	s_lshl_b64 s[10:11], s[36:37], 2
	s_add_u32 s2, s30, s10
	s_addc_u32 s3, s33, s11
	s_load_dword s37, s[2:3], 0x4
	s_waitcnt lgkmcnt(0)
	s_cmp_ge_i32 s34, s37
	s_cbranch_scc1 .LBB18_115
; %bb.4:
	v_mov_b32_e32 v2, 0
	v_mov_b32_e32 v3, 0x100000
	v_div_scale_f64 v[4:5], s[12:13], s[0:1], s[0:1], v[2:3]
	s_mov_b32 s12, 0
	v_mov_b32_e32 v11, s1
	s_mov_b32 s13, 0x100000
	v_mov_b32_e32 v10, s0
	s_load_dwordx8 s[20:27], s[4:5], 0x8
	s_mul_i32 s4, s36, s36
	s_mov_b32 s18, 0
	s_mov_b32 s5, s18
	;; [unrolled: 1-line block ×3, first 2 shown]
	s_waitcnt lgkmcnt(0)
	s_mul_i32 s7, s22, s9
	s_mul_i32 s19, s23, s8
	;; [unrolled: 1-line block ×3, first 2 shown]
	s_mul_hi_u32 s35, s26, s8
	s_mul_i32 s27, s27, s8
	v_rcp_f64_e32 v[6:7], v[4:5]
	v_mov_b32_e32 v1, 0
	s_movk_i32 s62, 0x204
	s_brev_b32 s39, 8
	v_mov_b32_e32 v26, 0x260
	v_mov_b32_e32 v27, 0x100
	;; [unrolled: 1-line block ×3, first 2 shown]
	v_fma_f64 v[8:9], -v[4:5], v[6:7], 1.0
	v_fma_f64 v[6:7], v[6:7], v[8:9], v[6:7]
	v_div_scale_f64 v[8:9], vcc, s[12:13], v[10:11], s[12:13]
	s_mul_hi_u32 s13, s22, s8
	s_add_i32 s7, s13, s7
	s_mul_i32 s12, s22, s8
	s_add_i32 s13, s7, s19
	s_lshl_b64 s[12:13], s[12:13], 3
	v_fma_f64 v[10:11], -v[4:5], v[6:7], 1.0
	s_add_u32 s63, s20, s12
	s_addc_u32 s64, s21, s13
	s_add_i32 s7, s35, s23
	s_mul_i32 s22, s26, s8
	s_add_i32 s23, s7, s27
	s_lshl_b64 s[12:13], s[22:23], 3
	s_add_u32 s65, s24, s12
	v_fma_f64 v[6:7], v[6:7], v[10:11], v[6:7]
	s_addc_u32 s66, s25, s13
	s_lshl_b64 s[12:13], s[8:9], 2
	s_add_u32 s20, s14, s12
	s_addc_u32 s21, s15, s13
	s_or_b32 s7, s4, 2
	s_mul_i32 s8, s7, s8
	s_ashr_i32 s9, s8, 31
	v_mul_f64 v[10:11], v[8:9], v[6:7]
	s_lshl_b64 s[8:9], s[8:9], 3
	s_add_u32 s67, s16, s8
	s_addc_u32 s68, s17, s9
	s_lshl_b32 s7, s36, 2
	s_lshr_b32 s8, s36, 31
	s_add_i32 s69, s7, 0
	s_add_i32 s7, s36, s8
	v_fma_f64 v[4:5], -v[4:5], v[10:11], v[8:9]
	s_and_b32 s7, s7, 0x3ffffffe
	s_sub_i32 s7, s36, s7
	s_lshl_b32 s7, s7, 2
	s_add_i32 s69, s69, s7
	s_add_u32 s10, s2, s10
	s_addc_u32 s11, s3, s11
	s_ashr_i32 s7, s6, 31
	v_div_fmas_f64 v[4:5], v[4:5], v[6:7], v[10:11]
	s_lshl_b64 s[8:9], s[6:7], 2
	s_add_u32 s7, s2, s8
	s_addc_u32 s70, s3, s9
	s_add_u32 s71, s10, s8
	s_addc_u32 s72, s11, s9
	v_div_fixup_f64 v[3:4], v[4:5], s[0:1], v[2:3]
	s_lshl_b64 s[0:1], s[4:5], 3
	s_add_u32 s16, s67, s0
	s_addc_u32 s17, s68, s1
	v_mov_b32_e32 v2, 0x3ff00000
	s_branch .LBB18_7
.LBB18_5:                               ;   in Loop: Header=BB18_7 Depth=1
	s_or_b64 exec, exec, s[2:3]
	s_waitcnt vmcnt(0)
	s_barrier
	s_barrier
.LBB18_6:                               ;   in Loop: Header=BB18_7 Depth=1
	s_add_i32 s34, s34, 8
	s_cmp_ge_i32 s34, s37
	s_cbranch_scc1 .LBB18_115
.LBB18_7:                               ; =>This Loop Header: Depth=1
                                        ;     Child Loop BB18_16 Depth 2
                                        ;     Child Loop BB18_26 Depth 2
                                        ;       Child Loop BB18_28 Depth 3
                                        ;     Child Loop BB18_33 Depth 2
                                        ;     Child Loop BB18_36 Depth 2
	;; [unrolled: 1-line block ×3, first 2 shown]
                                        ;       Child Loop BB18_43 Depth 3
                                        ;         Child Loop BB18_67 Depth 4
                                        ;         Child Loop BB18_76 Depth 4
                                        ;     Child Loop BB18_94 Depth 2
                                        ;       Child Loop BB18_98 Depth 3
                                        ;         Child Loop BB18_100 Depth 4
                                        ;       Child Loop BB18_106 Depth 3
                                        ;     Child Loop BB18_114 Depth 2
	s_ashr_i32 s35, s34, 31
	s_lshl_b64 s[0:1], s[34:35], 2
	s_add_u32 s0, s30, s0
	s_addc_u32 s1, s33, s1
	global_load_dwordx2 v[5:6], v1, s[0:1]
	s_mov_b32 s2, s18
	s_waitcnt vmcnt(0)
	v_readfirstlane_b32 s0, v5
	v_readfirstlane_b32 s1, v6
	s_sub_i32 s1, s1, s0
	s_cmp_lt_i32 s1, 3
	s_cbranch_scc1 .LBB18_12
; %bb.8:                                ;   in Loop: Header=BB18_7 Depth=1
	s_cmp_lt_u32 s1, 5
	s_mov_b32 s2, 1
	s_cbranch_scc1 .LBB18_12
; %bb.9:                                ;   in Loop: Header=BB18_7 Depth=1
	s_cmp_lt_u32 s1, 33
	s_mov_b32 s2, 2
	s_cbranch_scc1 .LBB18_12
; %bb.10:                               ;   in Loop: Header=BB18_7 Depth=1
	s_cmpk_lt_u32 s1, 0xe9
	s_mov_b32 s2, 4
	s_cbranch_scc1 .LBB18_12
; %bb.11:                               ;   in Loop: Header=BB18_7 Depth=1
	s_cmpk_lt_u32 s1, 0x128
	s_cselect_b32 s2, 5, 7
	s_cmpk_lt_u32 s1, 0x79b
	s_cselect_b32 s2, s2, 8
.LBB18_12:                              ;   in Loop: Header=BB18_7 Depth=1
	s_lshl_b32 s1, 1, s2
	s_cmp_ge_i32 s6, s1
	s_cbranch_scc1 .LBB18_6
; %bb.13:                               ;   in Loop: Header=BB18_7 Depth=1
	s_ashr_i32 s1, s0, 31
	s_lshl_b64 s[0:1], s[0:1], 2
	s_add_u32 s2, s7, s0
	s_addc_u32 s3, s70, s1
	s_add_u32 s0, s71, s0
	s_addc_u32 s1, s72, s1
	global_load_dword v5, v1, s[2:3] offset:8
	global_load_dword v6, v1, s[0:1] offset:8
	s_waitcnt vmcnt(1)
	v_mul_lo_u32 v11, v5, v5
	s_waitcnt vmcnt(0)
	v_readfirstlane_b32 s8, v6
	s_ashr_i32 s9, s8, 31
	s_lshl_b64 s[24:25], s[8:9], 3
	s_mul_i32 s0, s8, s31
	s_add_u32 s2, s28, s24
	s_addc_u32 s3, s29, s25
	s_ashr_i32 s1, s0, 31
	s_lshl_b64 s[4:5], s[0:1], 3
	s_add_u32 s35, s2, s4
	v_readfirstlane_b32 s22, v5
	s_addc_u32 s73, s3, s5
	v_cmp_lt_u32_e32 vcc, v0, v11
	s_and_saveexec_b64 s[10:11], vcc
	s_cbranch_execz .LBB18_22
; %bb.14:                               ;   in Loop: Header=BB18_7 Depth=1
	s_add_u32 s9, s63, s24
	s_addc_u32 s19, s64, s25
	s_add_u32 s23, s65, s24
	s_addc_u32 s26, s66, s25
	s_abs_i32 s27, s22
	v_cvt_f32_u32_e32 v5, s27
	s_sub_i32 s0, 0, s27
	s_mov_b64 s[12:13], 0
	s_ashr_i32 s40, s22, 31
	v_rcp_iflag_f32_e32 v5, v5
	s_sub_i32 s41, 0, s22
	s_sub_i32 s42, s31, s22
	v_mul_f32_e32 v5, 0x4f7ffffe, v5
	v_cvt_u32_f32_e32 v5, v5
	v_mul_lo_u32 v6, s0, v5
	v_mul_hi_u32 v6, v5, v6
	v_add_u32_e32 v12, v5, v6
	v_mov_b32_e32 v5, v0
	s_branch .LBB18_16
.LBB18_15:                              ;   in Loop: Header=BB18_16 Depth=2
	s_or_b64 exec, exec, s[0:1]
	v_mad_u64_u32 v[9:10], s[0:1], s42, v6, v[5:6]
	v_mov_b32_e32 v6, s73
	v_add_u32_e32 v5, 0x200, v5
	v_ashrrev_i32_e32 v10, 31, v9
	v_lshlrev_b64 v[9:10], 3, v[9:10]
	v_add_co_u32_e32 v9, vcc, s35, v9
	v_addc_co_u32_e32 v10, vcc, v6, v10, vcc
	v_cmp_ge_u32_e32 vcc, v5, v11
	s_or_b64 s[12:13], vcc, s[12:13]
	s_waitcnt vmcnt(0)
	global_store_dwordx2 v[9:10], v[7:8], off
	s_andn2_b64 exec, exec, s[12:13]
	s_cbranch_execz .LBB18_22
.LBB18_16:                              ;   Parent Loop BB18_7 Depth=1
                                        ; =>  This Inner Loop Header: Depth=2
	v_mul_hi_u32 v6, v5, v12
	v_mul_lo_u32 v7, v6, s27
	v_add_u32_e32 v8, 1, v6
	v_sub_u32_e32 v7, v5, v7
	v_cmp_le_u32_e32 vcc, s27, v7
	v_cndmask_b32_e32 v6, v6, v8, vcc
	v_subrev_u32_e32 v8, s27, v7
	v_cndmask_b32_e32 v7, v7, v8, vcc
	v_add_u32_e32 v8, 1, v6
	v_cmp_le_u32_e32 vcc, s27, v7
	v_cndmask_b32_e32 v6, v6, v8, vcc
	v_xor_b32_e32 v6, s40, v6
	v_subrev_u32_e32 v6, s40, v6
	v_mad_u64_u32 v[9:10], s[0:1], s41, v6, v[5:6]
	v_add_u32_e32 v7, 1, v6
	v_add_u32_e32 v8, -1, v6
	v_cmp_ne_u32_e64 s[0:1], v9, v7
	v_cmp_ne_u32_e64 s[2:3], v9, v8
	v_cmp_eq_u32_e32 vcc, v9, v7
	s_and_b64 s[0:1], s[0:1], s[2:3]
                                        ; implicit-def: $vgpr7_vgpr8
	s_and_saveexec_b64 s[2:3], s[0:1]
	s_xor_b64 s[2:3], exec, s[2:3]
	s_cbranch_execz .LBB18_20
; %bb.17:                               ;   in Loop: Header=BB18_16 Depth=2
	v_mov_b32_e32 v7, 0
	v_mov_b32_e32 v8, 0
	v_cmp_eq_u32_e64 s[0:1], v9, v6
	s_and_saveexec_b64 s[14:15], s[0:1]
	s_cbranch_execz .LBB18_19
; %bb.18:                               ;   in Loop: Header=BB18_16 Depth=2
	v_mov_b32_e32 v7, v1
	v_lshlrev_b64 v[7:8], 3, v[6:7]
	v_mov_b32_e32 v9, s19
	v_add_co_u32_e64 v7, s[0:1], s9, v7
	v_addc_co_u32_e64 v8, s[0:1], v9, v8, s[0:1]
	global_load_dwordx2 v[7:8], v[7:8], off
.LBB18_19:                              ;   in Loop: Header=BB18_16 Depth=2
	s_or_b64 exec, exec, s[14:15]
                                        ; implicit-def: $vgpr9_vgpr10
.LBB18_20:                              ;   in Loop: Header=BB18_16 Depth=2
	s_andn2_saveexec_b64 s[0:1], s[2:3]
	s_cbranch_execz .LBB18_15
; %bb.21:                               ;   in Loop: Header=BB18_16 Depth=2
	s_waitcnt vmcnt(0)
	v_ashrrev_i32_e32 v7, 31, v6
	v_cndmask_b32_e32 v8, 0, v7, vcc
	v_cndmask_b32_e32 v7, v9, v6, vcc
	v_lshlrev_b64 v[7:8], 3, v[7:8]
	v_mov_b32_e32 v9, s26
	v_add_co_u32_e32 v7, vcc, s23, v7
	v_addc_co_u32_e32 v8, vcc, v9, v8, vcc
	global_load_dwordx2 v[7:8], v[7:8], off
	s_branch .LBB18_15
.LBB18_22:                              ;   in Loop: Header=BB18_7 Depth=1
	s_or_b64 exec, exec, s[10:11]
	s_lshr_b32 s0, s22, 31
	s_add_i32 s0, s22, s0
	s_and_b32 s0, s0, -2
	s_sub_i32 s23, s22, s0
	s_add_i32 s23, s23, s22
	s_lshr_b32 s0, s23, 31
	s_add_i32 s0, s23, s0
	s_ashr_i32 s26, s0, 1
	s_min_i32 s77, s26, 0x80
	s_abs_i32 s0, s77
	v_cvt_f32_u32_e32 v5, s0
	s_sub_i32 s2, 0, s0
	s_lshl_b32 s45, s26, 3
	s_add_i32 s27, s69, s45
	v_rcp_iflag_f32_e32 v5, v5
	s_ashr_i32 s1, s77, 31
	s_waitcnt vmcnt(0)
	s_barrier
	v_mul_f32_e32 v5, 0x4f7ffffe, v5
	v_cvt_u32_f32_e32 v5, v5
	v_readfirstlane_b32 s3, v5
	s_mul_i32 s2, s2, s3
	s_mul_hi_u32 s2, s3, s2
	s_add_i32 s3, s3, s2
	s_lshr_b32 s2, s3, 23
	s_mul_i32 s3, s2, s0
	s_sub_i32 s3, 0x200, s3
	s_add_i32 s9, s2, 1
	s_sub_i32 s10, s3, s0
	s_cmp_ge_u32 s3, s0
	s_cselect_b32 s2, s9, s2
	s_cselect_b32 s3, s10, s3
	s_add_i32 s9, s2, 1
	s_cmp_ge_u32 s3, s0
	s_cselect_b32 s0, s9, s2
	s_xor_b32 s0, s0, s1
	s_sub_i32 s40, s0, s1
	s_min_i32 s74, s26, s40
	s_abs_i32 s41, s74
	v_cvt_f32_u32_e32 v5, s41
	s_sub_i32 s44, 0, s41
	s_ashr_i32 s48, s74, 31
	s_mul_i32 s0, s8, s36
	v_rcp_iflag_f32_e32 v5, v5
	s_add_u32 s2, s67, s24
	s_addc_u32 s3, s68, s25
	s_ashr_i32 s1, s0, 31
	v_mul_f32_e32 v5, 0x4f7ffffe, v5
	v_cvt_u32_f32_e32 v25, v5
	s_lshl_b64 s[8:9], s[0:1], 3
	s_add_u32 s75, s2, s8
	s_addc_u32 s76, s3, s9
	v_mul_lo_u32 v5, s44, v25
	v_mul_hi_u32 v5, v25, v5
	v_add_u32_e32 v5, v25, v5
	v_mul_hi_u32 v5, v0, v5
	v_mul_lo_u32 v6, v5, s41
	v_add_u32_e32 v7, 1, v5
	v_sub_u32_e32 v6, v0, v6
	v_cmp_le_u32_e32 vcc, s41, v6
	v_cndmask_b32_e32 v5, v5, v7, vcc
	v_subrev_u32_e32 v7, s41, v6
	v_cndmask_b32_e32 v6, v6, v7, vcc
	v_add_u32_e32 v7, 1, v5
	v_cmp_le_u32_e32 vcc, s41, v6
	v_cndmask_b32_e32 v5, v5, v7, vcc
	v_xor_b32_e32 v32, s48, v5
	v_subrev_u32_e32 v29, s48, v32
	v_mul_lo_u32 v9, v29, s74
	v_cmp_eq_u32_e64 s[0:1], 0, v29
	v_sub_u32_e32 v5, v0, v9
	s_and_saveexec_b64 s[2:3], s[0:1]
	s_cbranch_execz .LBB18_34
; %bb.23:                               ;   in Loop: Header=BB18_7 Depth=1
	v_mov_b32_e32 v6, 0
	v_mov_b32_e32 v10, 0
	;; [unrolled: 1-line block ×4, first 2 shown]
	v_cmp_gt_i32_e32 vcc, s22, v5
	s_and_saveexec_b64 s[10:11], vcc
	s_cbranch_execz .LBB18_31
; %bb.24:                               ;   in Loop: Header=BB18_7 Depth=1
	s_add_i32 s42, s22, -1
	s_add_u32 s4, s24, s4
	v_mul_lo_u32 v6, s31, v5
	s_addc_u32 s5, s25, s5
	s_add_u32 s43, s28, s4
	s_addc_u32 s46, s29, s5
	s_add_u32 s4, s24, s8
	v_add_u32_e32 v8, s42, v6
	s_addc_u32 s5, s25, s9
	v_add_u32_e32 v6, 1, v0
	s_add_u32 s49, s67, s4
	v_sub_u32_e32 v6, v6, v9
	s_addc_u32 s50, s68, s5
	v_mad_u64_u32 v[12:13], s[4:5], s22, v6, -1
	s_mul_i32 s4, s22, s42
	v_add_u32_e32 v6, s4, v0
	s_mul_i32 s4, s31, s42
	v_sub_u32_e32 v30, v6, v9
	v_add_u32_e32 v6, s4, v0
	v_sub_u32_e32 v31, v6, v9
	v_mov_b32_e32 v6, 0
	v_mov_b32_e32 v10, 0
	s_mul_i32 s47, s31, s74
	s_mul_i32 s51, s22, s74
	v_mov_b32_e32 v7, 0
	s_mov_b64 s[4:5], 0
	v_mov_b32_e32 v11, 0
	v_mov_b32_e32 v14, v5
	s_branch .LBB18_26
.LBB18_25:                              ;   in Loop: Header=BB18_26 Depth=2
	s_or_b64 exec, exec, s[12:13]
	v_fma_f64 v[10:11], v[15:16], v[15:16], v[10:11]
	v_add_u32_e32 v14, s74, v14
	v_cmp_le_i32_e32 vcc, s22, v14
	v_add_u32_e32 v8, s47, v8
	v_add_u32_e32 v12, s51, v12
	;; [unrolled: 1-line block ×3, first 2 shown]
	s_or_b64 s[4:5], vcc, s[4:5]
	v_add_u32_e32 v31, s74, v31
	s_andn2_b64 exec, exec, s[4:5]
	s_cbranch_execz .LBB18_30
.LBB18_26:                              ;   Parent Loop BB18_7 Depth=1
                                        ; =>  This Loop Header: Depth=2
                                        ;       Child Loop BB18_28 Depth 3
	v_mad_u64_u32 v[15:16], s[12:13], v14, s31, v[14:15]
	v_mov_b32_e32 v9, s73
	v_ashrrev_i32_e32 v16, 31, v15
	v_lshlrev_b64 v[15:16], 3, v[15:16]
	v_add_co_u32_e32 v17, vcc, s35, v15
	v_addc_co_u32_e32 v18, vcc, v9, v16, vcc
	global_load_dwordx2 v[15:16], v[17:18], off
	v_mov_b32_e32 v9, s76
	s_waitcnt vmcnt(0)
	v_mad_u64_u32 v[19:20], s[12:13], v14, s22, v[14:15]
	v_ashrrev_i32_e32 v20, 31, v19
	v_lshlrev_b64 v[19:20], 3, v[19:20]
	v_add_co_u32_e32 v19, vcc, s75, v19
	v_addc_co_u32_e32 v20, vcc, v9, v20, vcc
	v_cmp_gt_i32_e32 vcc, s42, v14
	global_store_dwordx2 v[19:20], v[15:16], off
	global_store_dwordx2 v[17:18], v[1:2], off
	s_and_saveexec_b64 s[12:13], vcc
	s_cbranch_execz .LBB18_25
; %bb.27:                               ;   in Loop: Header=BB18_26 Depth=2
	v_ashrrev_i32_e32 v9, 31, v8
	v_lshlrev_b64 v[17:18], 3, v[8:9]
	v_ashrrev_i32_e32 v13, 31, v12
	v_mov_b32_e32 v9, s46
	v_add_co_u32_e32 v17, vcc, s43, v17
	v_lshlrev_b64 v[19:20], 3, v[12:13]
	v_addc_co_u32_e32 v18, vcc, v9, v18, vcc
	v_mov_b32_e32 v9, s50
	v_add_co_u32_e32 v19, vcc, s49, v19
	v_addc_co_u32_e32 v20, vcc, v9, v20, vcc
	s_mov_b64 s[14:15], 0
	v_mov_b32_e32 v21, v31
	v_mov_b32_e32 v23, v30
	s_mov_b32 s52, s42
.LBB18_28:                              ;   Parent Loop BB18_7 Depth=1
                                        ;     Parent Loop BB18_26 Depth=2
                                        ; =>    This Inner Loop Header: Depth=3
	v_ashrrev_i32_e32 v22, 31, v21
	v_lshlrev_b64 v[33:34], 3, v[21:22]
	v_mov_b32_e32 v9, s73
	v_add_co_u32_e32 v33, vcc, s35, v33
	v_addc_co_u32_e32 v34, vcc, v9, v34, vcc
	global_load_dwordx2 v[35:36], v[33:34], off
	v_ashrrev_i32_e32 v24, 31, v23
	s_add_i32 s52, s52, -1
	v_lshlrev_b64 v[37:38], 3, v[23:24]
	v_cmp_le_i32_e32 vcc, s52, v14
	v_mov_b32_e32 v9, s76
	s_mov_b32 s19, s18
	s_or_b64 s[14:15], vcc, s[14:15]
	v_add_co_u32_e32 v37, vcc, s75, v37
	v_mov_b32_e32 v40, s19
	v_addc_co_u32_e32 v38, vcc, v9, v38, vcc
	v_mov_b32_e32 v39, s18
	v_subrev_u32_e32 v23, s22, v23
	v_subrev_u32_e32 v21, s31, v21
	s_waitcnt vmcnt(0)
	global_store_dwordx2 v[37:38], v[35:36], off
	global_store_dwordx2 v[19:20], v[35:36], off
	;; [unrolled: 1-line block ×4, first 2 shown]
	v_mul_f64 v[41:42], v[35:36], v[35:36]
	v_add_co_u32_e32 v17, vcc, -8, v17
	v_addc_co_u32_e32 v18, vcc, -1, v18, vcc
	v_add_co_u32_e32 v19, vcc, -8, v19
	v_addc_co_u32_e32 v20, vcc, -1, v20, vcc
	v_fma_f64 v[6:7], v[41:42], 2.0, v[6:7]
	s_andn2_b64 exec, exec, s[14:15]
	s_cbranch_execnz .LBB18_28
; %bb.29:                               ;   in Loop: Header=BB18_26 Depth=2
	s_or_b64 exec, exec, s[14:15]
	s_branch .LBB18_25
.LBB18_30:                              ;   in Loop: Header=BB18_7 Depth=1
	s_or_b64 exec, exec, s[4:5]
.LBB18_31:                              ;   in Loop: Header=BB18_7 Depth=1
	s_or_b64 exec, exec, s[10:11]
	v_lshlrev_b32_e32 v8, 3, v5
	v_add_u32_e32 v9, s69, v8
	ds_write_b64 v9, v[6:7]
	v_add_u32_e32 v6, s27, v8
	v_cmp_gt_i32_e32 vcc, s26, v5
	ds_write_b64 v6, v[10:11]
	s_and_b64 exec, exec, vcc
	s_cbranch_execz .LBB18_34
; %bb.32:                               ;   in Loop: Header=BB18_7 Depth=1
	s_lshl_b32 s10, s26, 2
	s_lshl_b32 s11, s74, 2
	;; [unrolled: 1-line block ×3, first 2 shown]
	s_mov_b64 s[4:5], 0
	v_lshlrev_b32_e32 v6, 1, v0
	v_lshl_add_u32 v7, v0, 2, 0
	v_mov_b32_e32 v8, v5
.LBB18_33:                              ;   Parent Loop BB18_7 Depth=1
                                        ; =>  This Inner Loop Header: Depth=2
	v_add_u32_e32 v8, s74, v8
	v_cmp_le_i32_e32 vcc, s26, v8
	ds_write_b32 v7, v6
	v_add_u32_e32 v9, 1, v6
	v_add_u32_e32 v10, s10, v7
	;; [unrolled: 1-line block ×4, first 2 shown]
	s_or_b64 s[4:5], vcc, s[4:5]
	ds_write_b32 v10, v9
	s_andn2_b64 exec, exec, s[4:5]
	s_cbranch_execnz .LBB18_33
.LBB18_34:                              ;   in Loop: Header=BB18_7 Depth=1
	s_or_b64 exec, exec, s[2:3]
	s_cmp_gt_i32 s74, 0
	v_mov_b32_e32 v6, 0
	v_mov_b32_e32 v18, 0
	s_cselect_b64 s[42:43], -1, 0
	s_cmp_lt_i32 s74, 1
	v_mov_b32_e32 v7, 0
	v_mov_b32_e32 v19, 0
	s_waitcnt vmcnt(0) lgkmcnt(0)
	s_barrier
	s_cbranch_scc1 .LBB18_37
; %bb.35:                               ;   in Loop: Header=BB18_7 Depth=1
	s_mov_b32 s2, s74
	s_mov_b32 s3, s69
.LBB18_36:                              ;   Parent Loop BB18_7 Depth=1
                                        ; =>  This Inner Loop Header: Depth=2
	s_add_i32 s4, s3, s45
	v_mov_b32_e32 v8, s3
	v_mov_b32_e32 v10, s4
	ds_read_b64 v[8:9], v8
	ds_read_b64 v[10:11], v10
	s_add_i32 s3, s3, 8
	s_add_i32 s2, s2, -1
	s_cmp_lg_u32 s2, 0
	s_waitcnt lgkmcnt(1)
	v_add_f64 v[18:19], v[18:19], v[8:9]
	s_waitcnt lgkmcnt(0)
	v_add_f64 v[6:7], v[6:7], v[10:11]
	s_cbranch_scc1 .LBB18_36
.LBB18_37:                              ;   in Loop: Header=BB18_7 Depth=1
	v_add_f64 v[6:7], v[6:7], v[18:19]
	s_mov_b32 s10, 0
	v_mul_f64 v[6:7], v[6:7], 0
	v_mul_f64 v[7:8], v[6:7], 0
	v_cmp_ngt_f64_e32 vcc, v[18:19], v[7:8]
	s_cbranch_vccnz .LBB18_109
; %bb.38:                               ;   in Loop: Header=BB18_7 Depth=1
	v_readfirstlane_b32 s4, v25
	s_lshl_b32 s2, s26, 2
	s_mul_i32 s44, s44, s4
	s_add_i32 s78, s2, 0
	s_add_i32 s2, s26, -1
	s_mul_hi_u32 s5, s4, s44
	s_xor_b32 s3, s2, s74
	s_abs_i32 s2, s2
	s_add_i32 s4, s4, s5
	s_mul_hi_u32 s4, s2, s4
	s_mul_i32 s5, s4, s41
	s_sub_i32 s2, s2, s5
	s_ashr_i32 s3, s3, 31
	s_add_i32 s5, s4, 1
	s_sub_i32 s10, s2, s41
	s_cmp_ge_u32 s2, s41
	s_cselect_b32 s4, s5, s4
	s_cselect_b32 s2, s10, s2
	s_add_i32 s5, s4, 1
	s_cmp_ge_u32 s2, s41
	s_cselect_b32 s2, s5, s4
	s_xor_b32 s2, s2, s3
	s_sub_i32 s80, s2, s3
	s_add_i32 s81, s23, -1
	s_cmp_gt_i32 s23, 1
	s_cselect_b64 s[44:45], -1, 0
	s_cmp_gt_i32 s80, -1
	v_lshlrev_b32_e32 v6, 3, v5
	s_cselect_b64 s[46:47], -1, 0
	v_add_u32_e32 v30, s69, v6
	v_add_u32_e32 v31, s27, v6
	v_lshlrev_b32_e32 v6, 1, v32
	s_lshl_b32 s10, s48, 1
	v_subrev_u32_e32 v32, s10, v6
	s_mul_i32 s10, s22, s77
	s_add_i32 s82, s22, 1
	s_lshl_b32 s83, s77, 1
	s_lshl_b32 s84, s10, 1
	s_add_u32 s8, s24, s8
	s_addc_u32 s9, s25, s9
	s_add_u32 s8, s67, s8
	v_ashrrev_i32_e32 v6, 31, v5
	s_addc_u32 s9, s68, s9
	s_ashr_i32 s41, s40, 31
	v_mov_b32_e32 v11, s40
	v_lshlrev_b64 v[9:10], 3, v[5:6]
	s_ashr_i32 s27, s26, 31
	v_mov_b32_e32 v12, s41
	v_or_b32_e32 v33, 1, v32
	v_cmp_lt_i64_e32 vcc, s[26:27], v[11:12]
	v_mul_lo_u32 v34, s22, v33
	v_mul_lo_u32 v35, s22, v32
	v_mov_b32_e32 v6, s9
	v_add_co_u32_e64 v9, s[8:9], s8, v9
	v_addc_co_u32_e64 v10, s[8:9], v6, v10, s[8:9]
	s_and_b64 s[8:9], vcc, exec
	s_cselect_b32 s9, s27, s41
	s_cselect_b32 s8, s26, s40
	s_ashr_i32 s23, s22, 31
	s_mov_b32 s79, 0
	v_cmp_gt_i32_e64 s[2:3], s26, v29
	v_cmp_gt_i32_e64 s[4:5], s22, v5
	s_lshl_b64 s[48:49], s[8:9], 3
	s_lshl_b64 s[50:51], s[22:23], 3
                                        ; implicit-def: $vgpr11_vgpr12
                                        ; implicit-def: $vgpr16_vgpr17
                                        ; implicit-def: $vgpr13_vgpr14
	s_andn2_b64 vcc, exec, s[44:45]
	s_cbranch_vccnz .LBB18_94
.LBB18_39:                              ;   in Loop: Header=BB18_7 Depth=1
	s_mov_b32 s23, 0
	s_branch .LBB18_41
.LBB18_40:                              ;   in Loop: Header=BB18_41 Depth=2
	s_add_i32 s23, s23, 1
	s_cmp_eq_u32 s23, s81
	s_cbranch_scc1 .LBB18_94
.LBB18_41:                              ;   Parent Loop BB18_7 Depth=1
                                        ; =>  This Loop Header: Depth=2
                                        ;       Child Loop BB18_43 Depth 3
                                        ;         Child Loop BB18_67 Depth 4
                                        ;         Child Loop BB18_76 Depth 4
	s_andn2_b64 vcc, exec, s[46:47]
	s_cbranch_vccnz .LBB18_40
; %bb.42:                               ;   in Loop: Header=BB18_41 Depth=2
	s_mov_b32 s27, 0
.LBB18_43:                              ;   Parent Loop BB18_7 Depth=1
                                        ;     Parent Loop BB18_41 Depth=2
                                        ; =>    This Loop Header: Depth=3
                                        ;         Child Loop BB18_67 Depth 4
                                        ;         Child Loop BB18_76 Depth 4
	s_mul_i32 s8, s27, s74
	v_add_u32_e32 v37, s8, v5
	v_cmp_gt_i32_e64 s[8:9], s26, v37
	v_mov_b32_e32 v15, s22
	s_and_saveexec_b64 s[10:11], s[8:9]
; %bb.44:                               ;   in Loop: Header=BB18_43 Depth=3
	v_lshl_add_u32 v6, v37, 2, 0
	ds_read_b32 v15, v6
; %bb.45:                               ;   in Loop: Header=BB18_43 Depth=3
	s_or_b64 exec, exec, s[10:11]
	v_mov_b32_e32 v6, s22
	v_lshl_add_u32 v36, v37, 2, s78
	s_and_saveexec_b64 s[10:11], s[8:9]
; %bb.46:                               ;   in Loop: Header=BB18_43 Depth=3
	ds_read_b32 v6, v36
; %bb.47:                               ;   in Loop: Header=BB18_43 Depth=3
	s_or_b64 exec, exec, s[10:11]
	s_waitcnt lgkmcnt(0)
	v_cmp_gt_i32_e64 s[10:11], s22, v15
	s_and_b64 s[14:15], s[0:1], s[10:11]
	v_cmp_gt_i32_e64 s[12:13], s22, v6
	s_and_b64 s[52:53], s[14:15], s[12:13]
	s_and_saveexec_b64 s[54:55], s[52:53]
	s_cbranch_execz .LBB18_63
; %bb.48:                               ;   in Loop: Header=BB18_43 Depth=3
	v_mul_lo_u32 v20, v6, s22
	v_mov_b32_e32 v16, s76
	v_add_u32_e32 v13, v20, v15
	v_ashrrev_i32_e32 v14, 31, v13
	v_lshlrev_b64 v[13:14], 3, v[13:14]
	v_add_co_u32_e32 v13, vcc, s75, v13
	v_addc_co_u32_e32 v14, vcc, v16, v14, vcc
	global_load_dwordx2 v[18:19], v[13:14], off
	v_mov_b32_e32 v16, 0
	v_mov_b32_e32 v17, 0
	s_waitcnt vmcnt(0)
	v_mul_f64 v[13:14], v[18:19], v[18:19]
	v_cmp_nlt_f64_e32 vcc, v[13:14], v[3:4]
	v_mov_b32_e32 v13, 0
	v_mov_b32_e32 v14, 0x3ff00000
	s_and_saveexec_b64 s[56:57], vcc
	s_cbranch_execz .LBB18_62
; %bb.49:                               ;   in Loop: Header=BB18_43 Depth=3
	v_add_u32_e32 v13, v20, v6
	v_ashrrev_i32_e32 v14, 31, v13
	v_mul_lo_u32 v16, v15, s82
	v_lshlrev_b64 v[13:14], 3, v[13:14]
	v_mov_b32_e32 v17, s76
	v_add_co_u32_e32 v13, vcc, s75, v13
	v_addc_co_u32_e32 v14, vcc, v17, v14, vcc
	v_ashrrev_i32_e32 v17, 31, v16
	v_lshlrev_b64 v[16:17], 3, v[16:17]
	v_mov_b32_e32 v20, s76
	v_add_co_u32_e32 v16, vcc, s75, v16
	v_addc_co_u32_e32 v17, vcc, v20, v17, vcc
	global_load_dwordx2 v[13:14], v[13:14], off
	s_nop 0
	global_load_dwordx2 v[20:21], v[16:17], off
	v_add_f64 v[16:17], |v[18:19]|, |v[18:19]|
	v_cmp_class_f64_e64 s[58:59], v[16:17], s62
	s_waitcnt vmcnt(0)
	v_add_f64 v[20:21], v[13:14], -v[20:21]
	v_max_f64 v[13:14], |v[20:21]|, |v[16:17]|
	v_cmp_ngt_f64_e32 vcc, 0, v[20:21]
	v_cmp_class_f64_e64 s[60:61], v[20:21], s62
	v_frexp_exp_i32_f64_e32 v22, v[13:14]
	v_sub_u32_e32 v23, 0, v22
	v_ldexp_f64 v[13:14], |v[16:17]|, v23
	v_ldexp_f64 v[23:24], |v[20:21]|, v23
	v_mul_f64 v[13:14], v[13:14], v[13:14]
	v_fma_f64 v[13:14], v[23:24], v[23:24], v[13:14]
	v_rsq_f64_e32 v[23:24], v[13:14]
	v_cmp_eq_f64_e64 s[14:15], 0, v[13:14]
	v_mul_f64 v[38:39], v[13:14], v[23:24]
	v_mul_f64 v[23:24], v[23:24], 0.5
	v_fma_f64 v[40:41], -v[23:24], v[38:39], 0.5
	v_fma_f64 v[38:39], v[38:39], v[40:41], v[38:39]
	v_fma_f64 v[23:24], v[23:24], v[40:41], v[23:24]
	v_fma_f64 v[40:41], -v[38:39], v[38:39], v[13:14]
	v_fma_f64 v[23:24], v[40:41], v[23:24], v[38:39]
	v_cndmask_b32_e64 v14, v24, v14, s[14:15]
	v_cndmask_b32_e64 v13, v23, v13, s[14:15]
                                        ; implicit-def: $vgpr24_vgpr25
	s_and_saveexec_b64 s[14:15], vcc
	s_xor_b64 s[14:15], exec, s[14:15]
	s_cbranch_execz .LBB18_51
; %bb.50:                               ;   in Loop: Header=BB18_43 Depth=3
	v_ldexp_f64 v[13:14], v[13:14], v22
	v_cmp_o_f64_e32 vcc, v[20:21], v[16:17]
	v_mov_b32_e32 v22, 0x7ff80000
	v_mov_b32_e32 v23, 0x7ff00000
	v_cndmask_b32_e32 v13, 0, v13, vcc
	v_cndmask_b32_e32 v14, v22, v14, vcc
	s_or_b64 vcc, s[58:59], s[60:61]
	v_cndmask_b32_e32 v25, v14, v23, vcc
	v_cndmask_b32_e64 v24, v13, 0, vcc
                                        ; implicit-def: $vgpr13_vgpr14
                                        ; implicit-def: $vgpr22
.LBB18_51:                              ;   in Loop: Header=BB18_43 Depth=3
	s_andn2_saveexec_b64 s[14:15], s[14:15]
	s_cbranch_execz .LBB18_53
; %bb.52:                               ;   in Loop: Header=BB18_43 Depth=3
	v_ldexp_f64 v[13:14], -v[13:14], v22
	v_cmp_o_f64_e32 vcc, v[16:17], v[16:17]
	v_mov_b32_e32 v22, 0xfff80000
	v_mov_b32_e32 v23, 0xfff00000
	v_cndmask_b32_e32 v13, 0, v13, vcc
	v_cndmask_b32_e32 v14, v22, v14, vcc
	s_or_b64 vcc, s[58:59], s[60:61]
	v_cndmask_b32_e32 v25, v14, v23, vcc
	v_cndmask_b32_e64 v24, v13, 0, vcc
.LBB18_53:                              ;   in Loop: Header=BB18_43 Depth=3
	s_or_b64 exec, exec, s[14:15]
	v_cmp_neq_f64_e32 vcc, 0, v[16:17]
	v_mov_b32_e32 v22, 0
	v_mov_b32_e32 v13, 0
	;; [unrolled: 1-line block ×4, first 2 shown]
	s_and_saveexec_b64 s[14:15], vcc
	s_cbranch_execz .LBB18_61
; %bb.54:                               ;   in Loop: Header=BB18_43 Depth=3
	v_add_f64 v[20:21], v[20:21], v[24:25]
	v_mov_b32_e32 v13, 0
	v_mov_b32_e32 v22, 0
	;; [unrolled: 1-line block ×4, first 2 shown]
	v_cmp_neq_f64_e32 vcc, 0, v[20:21]
	s_and_saveexec_b64 s[58:59], vcc
	s_cbranch_execz .LBB18_60
; %bb.55:                               ;   in Loop: Header=BB18_43 Depth=3
	v_cmp_ngt_f64_e64 s[60:61], |v[16:17]|, |v[20:21]|
                                        ; implicit-def: $vgpr22_vgpr23
                                        ; implicit-def: $vgpr13_vgpr14
	s_and_saveexec_b64 s[86:87], s[60:61]
	s_xor_b64 s[60:61], exec, s[86:87]
	s_cbranch_execz .LBB18_57
; %bb.56:                               ;   in Loop: Header=BB18_43 Depth=3
	v_div_scale_f64 v[13:14], s[86:87], v[20:21], v[20:21], -v[16:17]
	v_rcp_f64_e32 v[22:23], v[13:14]
	v_fma_f64 v[24:25], -v[13:14], v[22:23], 1.0
	v_fma_f64 v[22:23], v[22:23], v[24:25], v[22:23]
	v_div_scale_f64 v[24:25], vcc, -v[16:17], v[20:21], -v[16:17]
	v_fma_f64 v[38:39], -v[13:14], v[22:23], 1.0
	v_fma_f64 v[22:23], v[22:23], v[38:39], v[22:23]
	v_mul_f64 v[38:39], v[24:25], v[22:23]
	v_fma_f64 v[13:14], -v[13:14], v[38:39], v[24:25]
	v_div_fmas_f64 v[13:14], v[13:14], v[22:23], v[38:39]
	v_div_fixup_f64 v[16:17], v[13:14], v[20:21], -v[16:17]
	v_fma_f64 v[13:14], v[16:17], v[16:17], 1.0
	v_cmp_gt_f64_e32 vcc, s[38:39], v[13:14]
	v_cndmask_b32_e32 v20, 0, v27, vcc
	v_ldexp_f64 v[13:14], v[13:14], v20
	v_rsq_f64_e32 v[20:21], v[13:14]
	v_mul_f64 v[22:23], v[13:14], v[20:21]
	v_mul_f64 v[20:21], v[20:21], 0.5
	v_fma_f64 v[24:25], -v[20:21], v[22:23], 0.5
	v_fma_f64 v[22:23], v[22:23], v[24:25], v[22:23]
	v_fma_f64 v[20:21], v[20:21], v[24:25], v[20:21]
	v_fma_f64 v[24:25], -v[22:23], v[22:23], v[13:14]
	v_fma_f64 v[22:23], v[24:25], v[20:21], v[22:23]
	v_fma_f64 v[24:25], -v[22:23], v[22:23], v[13:14]
	v_fma_f64 v[20:21], v[24:25], v[20:21], v[22:23]
	v_cndmask_b32_e32 v22, 0, v28, vcc
	v_cmp_class_f64_e32 vcc, v[13:14], v26
	v_ldexp_f64 v[20:21], v[20:21], v22
	v_cndmask_b32_e32 v14, v21, v14, vcc
	v_cndmask_b32_e32 v13, v20, v13, vcc
	v_div_scale_f64 v[20:21], s[86:87], v[13:14], v[13:14], 1.0
	v_div_scale_f64 v[38:39], vcc, 1.0, v[13:14], 1.0
	v_rcp_f64_e32 v[22:23], v[20:21]
	v_fma_f64 v[24:25], -v[20:21], v[22:23], 1.0
	v_fma_f64 v[22:23], v[22:23], v[24:25], v[22:23]
	v_fma_f64 v[24:25], -v[20:21], v[22:23], 1.0
	v_fma_f64 v[22:23], v[22:23], v[24:25], v[22:23]
	v_mul_f64 v[24:25], v[38:39], v[22:23]
	v_fma_f64 v[20:21], -v[20:21], v[24:25], v[38:39]
	v_div_fmas_f64 v[20:21], v[20:21], v[22:23], v[24:25]
	v_div_fixup_f64 v[13:14], v[20:21], v[13:14], 1.0
                                        ; implicit-def: $vgpr20_vgpr21
	v_mul_f64 v[22:23], v[16:17], v[13:14]
                                        ; implicit-def: $vgpr16_vgpr17
.LBB18_57:                              ;   in Loop: Header=BB18_43 Depth=3
	s_andn2_saveexec_b64 s[60:61], s[60:61]
	s_cbranch_execz .LBB18_59
; %bb.58:                               ;   in Loop: Header=BB18_43 Depth=3
	v_div_scale_f64 v[13:14], s[86:87], v[16:17], v[16:17], -v[20:21]
	v_rcp_f64_e32 v[22:23], v[13:14]
	v_fma_f64 v[24:25], -v[13:14], v[22:23], 1.0
	v_fma_f64 v[22:23], v[22:23], v[24:25], v[22:23]
	v_div_scale_f64 v[24:25], vcc, -v[20:21], v[16:17], -v[20:21]
	v_fma_f64 v[38:39], -v[13:14], v[22:23], 1.0
	v_fma_f64 v[22:23], v[22:23], v[38:39], v[22:23]
	v_mul_f64 v[38:39], v[24:25], v[22:23]
	v_fma_f64 v[13:14], -v[13:14], v[38:39], v[24:25]
	v_div_fmas_f64 v[13:14], v[13:14], v[22:23], v[38:39]
	v_div_fixup_f64 v[13:14], v[13:14], v[16:17], -v[20:21]
	v_fma_f64 v[16:17], v[13:14], v[13:14], 1.0
	v_cmp_gt_f64_e32 vcc, s[38:39], v[16:17]
	v_cndmask_b32_e32 v20, 0, v27, vcc
	v_ldexp_f64 v[16:17], v[16:17], v20
	v_rsq_f64_e32 v[20:21], v[16:17]
	v_mul_f64 v[22:23], v[16:17], v[20:21]
	v_mul_f64 v[20:21], v[20:21], 0.5
	v_fma_f64 v[24:25], -v[20:21], v[22:23], 0.5
	v_fma_f64 v[22:23], v[22:23], v[24:25], v[22:23]
	v_fma_f64 v[20:21], v[20:21], v[24:25], v[20:21]
	v_fma_f64 v[24:25], -v[22:23], v[22:23], v[16:17]
	v_fma_f64 v[22:23], v[24:25], v[20:21], v[22:23]
	v_fma_f64 v[24:25], -v[22:23], v[22:23], v[16:17]
	v_fma_f64 v[20:21], v[24:25], v[20:21], v[22:23]
	v_cndmask_b32_e32 v22, 0, v28, vcc
	v_cmp_class_f64_e32 vcc, v[16:17], v26
	v_ldexp_f64 v[20:21], v[20:21], v22
	v_cndmask_b32_e32 v17, v21, v17, vcc
	v_cndmask_b32_e32 v16, v20, v16, vcc
	v_div_scale_f64 v[20:21], s[86:87], v[16:17], v[16:17], 1.0
	v_div_scale_f64 v[38:39], vcc, 1.0, v[16:17], 1.0
	v_rcp_f64_e32 v[22:23], v[20:21]
	v_fma_f64 v[24:25], -v[20:21], v[22:23], 1.0
	v_fma_f64 v[22:23], v[22:23], v[24:25], v[22:23]
	v_fma_f64 v[24:25], -v[20:21], v[22:23], 1.0
	v_fma_f64 v[22:23], v[22:23], v[24:25], v[22:23]
	v_mul_f64 v[24:25], v[38:39], v[22:23]
	v_fma_f64 v[20:21], -v[20:21], v[24:25], v[38:39]
	v_div_fmas_f64 v[20:21], v[20:21], v[22:23], v[24:25]
	v_div_fixup_f64 v[22:23], v[20:21], v[16:17], 1.0
	v_mul_f64 v[13:14], v[13:14], v[22:23]
.LBB18_59:                              ;   in Loop: Header=BB18_43 Depth=3
	s_or_b64 exec, exec, s[60:61]
.LBB18_60:                              ;   in Loop: Header=BB18_43 Depth=3
	s_or_b64 exec, exec, s[58:59]
.LBB18_61:                              ;   in Loop: Header=BB18_43 Depth=3
	s_or_b64 exec, exec, s[14:15]
	v_mul_f64 v[16:17], v[18:19], v[22:23]
	v_and_b32_e32 v21, 0x7fffffff, v19
	v_mov_b32_e32 v20, v18
	v_div_scale_f64 v[22:23], s[14:15], v[20:21], v[20:21], v[16:17]
	v_div_scale_f64 v[20:21], vcc, v[16:17], v[20:21], v[16:17]
	v_rcp_f64_e32 v[24:25], v[22:23]
	v_fma_f64 v[38:39], -v[22:23], v[24:25], 1.0
	v_fma_f64 v[24:25], v[24:25], v[38:39], v[24:25]
	v_fma_f64 v[38:39], -v[22:23], v[24:25], 1.0
	v_fma_f64 v[24:25], v[24:25], v[38:39], v[24:25]
	v_mul_f64 v[38:39], v[20:21], v[24:25]
	v_fma_f64 v[20:21], -v[22:23], v[38:39], v[20:21]
	v_div_fmas_f64 v[20:21], v[20:21], v[24:25], v[38:39]
	v_div_fixup_f64 v[16:17], v[20:21], |v[18:19]|, v[16:17]
.LBB18_62:                              ;   in Loop: Header=BB18_43 Depth=3
	s_or_b64 exec, exec, s[56:57]
	ds_write_b64 v30, v[13:14]
	ds_write_b64 v31, v[16:17]
.LBB18_63:                              ;   in Loop: Header=BB18_43 Depth=3
	s_or_b64 exec, exec, s[54:55]
	s_and_b64 s[10:11], s[10:11], s[12:13]
	s_mov_b64 s[14:15], 0
	s_waitcnt lgkmcnt(0)
	s_barrier
	s_and_saveexec_b64 s[12:13], s[10:11]
	s_cbranch_execz .LBB18_73
; %bb.64:                               ;   in Loop: Header=BB18_43 Depth=3
	ds_read_b64 v[13:14], v30
	ds_read_b64 v[16:17], v31
	s_mov_b64 s[10:11], 0
	s_and_saveexec_b64 s[14:15], s[2:3]
	s_cbranch_execz .LBB18_72
; %bb.65:                               ;   in Loop: Header=BB18_43 Depth=3
	v_mul_lo_u32 v20, v15, s22
	v_mul_lo_u32 v21, v6, s22
	;; [unrolled: 1-line block ×4, first 2 shown]
	s_mov_b64 s[54:55], 0
	v_mov_b32_e32 v24, v32
	v_mov_b32_e32 v25, v29
	s_branch .LBB18_67
.LBB18_66:                              ;   in Loop: Header=BB18_67 Depth=4
	s_or_b64 exec, exec, s[10:11]
	v_add_u32_e32 v25, s77, v25
	v_cmp_le_i32_e32 vcc, s26, v25
	s_or_b64 s[54:55], vcc, s[54:55]
	v_add_u32_e32 v24, s83, v24
	s_andn2_b64 exec, exec, s[54:55]
	s_cbranch_execz .LBB18_71
.LBB18_67:                              ;   Parent Loop BB18_7 Depth=1
                                        ;     Parent Loop BB18_41 Depth=2
                                        ;       Parent Loop BB18_43 Depth=3
                                        ; =>      This Inner Loop Header: Depth=4
	v_add_u32_e32 v11, v20, v24
	v_ashrrev_i32_e32 v12, 31, v11
	v_lshlrev_b64 v[11:12], 3, v[11:12]
	v_mov_b32_e32 v18, s76
	v_add_co_u32_e32 v11, vcc, s75, v11
	v_addc_co_u32_e32 v12, vcc, v18, v12, vcc
	v_add_u32_e32 v18, v21, v24
	v_ashrrev_i32_e32 v19, 31, v18
	v_lshlrev_b64 v[18:19], 3, v[18:19]
	v_mov_b32_e32 v38, s76
	v_add_co_u32_e32 v18, vcc, s75, v18
	v_addc_co_u32_e32 v19, vcc, v38, v19, vcc
	global_load_dwordx2 v[38:39], v[18:19], off
	global_load_dwordx2 v[40:41], v[11:12], off
	s_waitcnt vmcnt(1) lgkmcnt(0)
	v_mul_f64 v[42:43], v[16:17], v[38:39]
	s_waitcnt vmcnt(0)
	v_mul_f64 v[44:45], v[16:17], v[40:41]
	v_fma_f64 v[40:41], v[13:14], v[40:41], v[42:43]
	v_fma_f64 v[38:39], v[13:14], v[38:39], -v[44:45]
	v_add_u32_e32 v42, 1, v24
	v_cmp_gt_i32_e32 vcc, s22, v42
	global_store_dwordx2 v[11:12], v[40:41], off
	global_store_dwordx2 v[18:19], v[38:39], off
	s_and_saveexec_b64 s[10:11], vcc
	s_cbranch_execz .LBB18_69
; %bb.68:                               ;   in Loop: Header=BB18_67 Depth=4
	global_load_dwordx2 v[38:39], v[18:19], off offset:8
	global_load_dwordx2 v[40:41], v[11:12], off offset:8
	s_waitcnt vmcnt(1)
	v_mul_f64 v[42:43], v[16:17], v[38:39]
	s_waitcnt vmcnt(0)
	v_mul_f64 v[44:45], v[16:17], v[40:41]
	v_fma_f64 v[40:41], v[13:14], v[40:41], v[42:43]
	v_fma_f64 v[38:39], v[13:14], v[38:39], -v[44:45]
	global_store_dwordx2 v[11:12], v[40:41], off offset:8
	global_store_dwordx2 v[18:19], v[38:39], off offset:8
.LBB18_69:                              ;   in Loop: Header=BB18_67 Depth=4
	s_or_b64 exec, exec, s[10:11]
	v_add_u32_e32 v11, v22, v24
	v_ashrrev_i32_e32 v12, 31, v11
	v_lshlrev_b64 v[11:12], 3, v[11:12]
	v_mov_b32_e32 v18, s73
	v_add_co_u32_e64 v11, s[10:11], s35, v11
	v_addc_co_u32_e64 v12, s[10:11], v18, v12, s[10:11]
	v_add_u32_e32 v18, v23, v24
	v_ashrrev_i32_e32 v19, 31, v18
	v_lshlrev_b64 v[18:19], 3, v[18:19]
	v_mov_b32_e32 v38, s73
	v_add_co_u32_e64 v18, s[10:11], s35, v18
	v_addc_co_u32_e64 v19, s[10:11], v38, v19, s[10:11]
	global_load_dwordx2 v[38:39], v[18:19], off
	global_load_dwordx2 v[40:41], v[11:12], off
	s_waitcnt vmcnt(1)
	v_mul_f64 v[42:43], v[16:17], v[38:39]
	s_waitcnt vmcnt(0)
	v_mul_f64 v[44:45], v[16:17], v[40:41]
	v_fma_f64 v[40:41], v[13:14], v[40:41], v[42:43]
	v_fma_f64 v[38:39], v[13:14], v[38:39], -v[44:45]
	global_store_dwordx2 v[11:12], v[40:41], off
	global_store_dwordx2 v[18:19], v[38:39], off
	s_and_saveexec_b64 s[10:11], vcc
	s_cbranch_execz .LBB18_66
; %bb.70:                               ;   in Loop: Header=BB18_67 Depth=4
	global_load_dwordx2 v[38:39], v[18:19], off offset:8
	global_load_dwordx2 v[40:41], v[11:12], off offset:8
	s_waitcnt vmcnt(1)
	v_mul_f64 v[42:43], v[16:17], v[38:39]
	s_waitcnt vmcnt(0)
	v_mul_f64 v[44:45], v[16:17], v[40:41]
	v_fma_f64 v[40:41], v[13:14], v[40:41], v[42:43]
	v_fma_f64 v[38:39], v[13:14], v[38:39], -v[44:45]
	global_store_dwordx2 v[11:12], v[40:41], off offset:8
	global_store_dwordx2 v[18:19], v[38:39], off offset:8
	s_branch .LBB18_66
.LBB18_71:                              ;   in Loop: Header=BB18_43 Depth=3
	s_or_b64 exec, exec, s[54:55]
	s_mov_b64 s[10:11], exec
.LBB18_72:                              ;   in Loop: Header=BB18_43 Depth=3
	s_or_b64 exec, exec, s[14:15]
	s_waitcnt lgkmcnt(0)
	v_mov_b32_e32 v11, v16
	s_and_b64 s[14:15], s[10:11], exec
	v_mov_b32_e32 v12, v17
.LBB18_73:                              ;   in Loop: Header=BB18_43 Depth=3
	s_or_b64 exec, exec, s[12:13]
	s_waitcnt vmcnt(0)
	s_barrier
	s_and_saveexec_b64 s[10:11], s[14:15]
	s_cbranch_execz .LBB18_78
; %bb.74:                               ;   in Loop: Header=BB18_43 Depth=3
	v_add_u32_e32 v18, v35, v6
	v_add_u32_e32 v19, v35, v15
	s_mov_b32 s19, 0
	s_mov_b64 s[12:13], 0
	v_mov_b32_e32 v20, v33
	v_mov_b32_e32 v21, v29
	s_branch .LBB18_76
.LBB18_75:                              ;   in Loop: Header=BB18_76 Depth=4
	s_or_b64 exec, exec, s[14:15]
	v_add_u32_e32 v21, s77, v21
	s_add_i32 s19, s19, s84
	v_cmp_le_i32_e32 vcc, s26, v21
	s_or_b64 s[12:13], vcc, s[12:13]
	v_add_u32_e32 v20, s83, v20
	s_andn2_b64 exec, exec, s[12:13]
	s_cbranch_execz .LBB18_78
.LBB18_76:                              ;   Parent Loop BB18_7 Depth=1
                                        ;     Parent Loop BB18_41 Depth=2
                                        ;       Parent Loop BB18_43 Depth=3
                                        ; =>      This Inner Loop Header: Depth=4
	v_add_u32_e32 v22, s19, v19
	v_ashrrev_i32_e32 v23, 31, v22
	v_lshlrev_b64 v[22:23], 3, v[22:23]
	v_mov_b32_e32 v24, s76
	v_add_co_u32_e32 v22, vcc, s75, v22
	v_addc_co_u32_e32 v23, vcc, v24, v23, vcc
	v_add_u32_e32 v24, s19, v18
	v_ashrrev_i32_e32 v25, 31, v24
	v_lshlrev_b64 v[24:25], 3, v[24:25]
	v_mov_b32_e32 v38, s76
	v_add_co_u32_e32 v24, vcc, s75, v24
	v_addc_co_u32_e32 v25, vcc, v38, v25, vcc
	global_load_dwordx2 v[38:39], v[24:25], off
	global_load_dwordx2 v[40:41], v[22:23], off
	v_cmp_gt_i32_e32 vcc, s22, v20
	s_waitcnt vmcnt(1)
	v_mul_f64 v[42:43], v[16:17], v[38:39]
	s_waitcnt vmcnt(0)
	v_mul_f64 v[44:45], v[11:12], v[40:41]
	v_fma_f64 v[40:41], v[13:14], v[40:41], v[42:43]
	v_fma_f64 v[38:39], v[13:14], v[38:39], -v[44:45]
	global_store_dwordx2 v[22:23], v[40:41], off
	global_store_dwordx2 v[24:25], v[38:39], off
	s_and_saveexec_b64 s[14:15], vcc
	s_cbranch_execz .LBB18_75
; %bb.77:                               ;   in Loop: Header=BB18_76 Depth=4
	v_add_u32_e32 v22, v34, v15
	v_add_u32_e32 v22, s19, v22
	v_ashrrev_i32_e32 v23, 31, v22
	v_lshlrev_b64 v[22:23], 3, v[22:23]
	v_mov_b32_e32 v24, s76
	v_add_co_u32_e32 v22, vcc, s75, v22
	v_addc_co_u32_e32 v23, vcc, v24, v23, vcc
	v_add_u32_e32 v24, v34, v6
	v_add_u32_e32 v24, s19, v24
	v_ashrrev_i32_e32 v25, 31, v24
	v_lshlrev_b64 v[24:25], 3, v[24:25]
	v_mov_b32_e32 v38, s76
	v_add_co_u32_e32 v24, vcc, s75, v24
	v_addc_co_u32_e32 v25, vcc, v38, v25, vcc
	global_load_dwordx2 v[38:39], v[24:25], off
	global_load_dwordx2 v[40:41], v[22:23], off
	s_waitcnt vmcnt(1)
	v_mul_f64 v[42:43], v[16:17], v[38:39]
	s_waitcnt vmcnt(0)
	v_mul_f64 v[44:45], v[11:12], v[40:41]
	v_fma_f64 v[40:41], v[13:14], v[40:41], v[42:43]
	v_fma_f64 v[38:39], v[13:14], v[38:39], -v[44:45]
	global_store_dwordx2 v[22:23], v[40:41], off
	global_store_dwordx2 v[24:25], v[38:39], off
	s_branch .LBB18_75
.LBB18_78:                              ;   in Loop: Header=BB18_43 Depth=3
	s_or_b64 exec, exec, s[10:11]
	s_waitcnt vmcnt(0)
	s_barrier
	s_and_saveexec_b64 s[10:11], s[52:53]
	s_cbranch_execz .LBB18_80
; %bb.79:                               ;   in Loop: Header=BB18_43 Depth=3
	v_mad_u64_u32 v[18:19], s[12:13], v6, s22, v[15:16]
	v_mov_b32_e32 v20, s76
	s_mov_b32 s19, s18
	v_ashrrev_i32_e32 v19, 31, v18
	v_lshlrev_b64 v[18:19], 3, v[18:19]
	v_mov_b32_e32 v23, s19
	v_add_co_u32_e32 v18, vcc, s75, v18
	v_addc_co_u32_e32 v19, vcc, v20, v19, vcc
	v_mad_u64_u32 v[20:21], s[12:13], v15, s22, v[6:7]
	v_mov_b32_e32 v22, s18
	global_store_dwordx2 v[18:19], v[22:23], off
	v_ashrrev_i32_e32 v21, 31, v20
	v_lshlrev_b64 v[18:19], 3, v[20:21]
	v_mov_b32_e32 v20, s76
	v_add_co_u32_e32 v18, vcc, s75, v18
	v_addc_co_u32_e32 v19, vcc, v20, v19, vcc
	global_store_dwordx2 v[18:19], v[22:23], off
.LBB18_80:                              ;   in Loop: Header=BB18_43 Depth=3
	s_or_b64 exec, exec, s[10:11]
	s_and_b64 s[8:9], s[0:1], s[8:9]
	s_waitcnt vmcnt(0)
	s_barrier
	s_and_saveexec_b64 s[10:11], s[8:9]
	s_cbranch_execz .LBB18_92
; %bb.81:                               ;   in Loop: Header=BB18_43 Depth=3
	v_cmp_lt_i32_e32 vcc, 0, v15
	s_and_saveexec_b64 s[12:13], vcc
	s_cbranch_execz .LBB18_87
; %bb.82:                               ;   in Loop: Header=BB18_43 Depth=3
	v_cmp_ne_u32_e32 vcc, 2, v15
	v_cmp_ne_u32_e64 s[8:9], s81, v15
	s_and_b64 s[8:9], vcc, s[8:9]
                                        ; implicit-def: $vgpr18
	s_and_saveexec_b64 s[14:15], s[8:9]
	s_xor_b64 s[8:9], exec, s[14:15]
; %bb.83:                               ;   in Loop: Header=BB18_43 Depth=3
	v_and_b32_e32 v18, 1, v15
	v_cmp_eq_u32_e32 vcc, 0, v18
	v_cndmask_b32_e64 v18, 2, -2, vcc
	v_add_u32_e32 v18, v18, v15
                                        ; implicit-def: $vgpr15
; %bb.84:                               ;   in Loop: Header=BB18_43 Depth=3
	s_andn2_saveexec_b64 s[8:9], s[8:9]
; %bb.85:                               ;   in Loop: Header=BB18_43 Depth=3
	v_add_u32_e32 v18, -1, v15
; %bb.86:                               ;   in Loop: Header=BB18_43 Depth=3
	s_or_b64 exec, exec, s[8:9]
	v_lshl_add_u32 v15, v37, 2, 0
	ds_write_b32 v15, v18
.LBB18_87:                              ;   in Loop: Header=BB18_43 Depth=3
	s_or_b64 exec, exec, s[12:13]
	v_cmp_ne_u32_e32 vcc, 2, v6
	v_cmp_ne_u32_e64 s[8:9], s81, v6
	s_and_b64 s[8:9], vcc, s[8:9]
                                        ; implicit-def: $vgpr15
	s_and_saveexec_b64 s[12:13], s[8:9]
	s_xor_b64 s[8:9], exec, s[12:13]
; %bb.88:                               ;   in Loop: Header=BB18_43 Depth=3
	v_and_b32_e32 v15, 1, v6
	v_cmp_eq_u32_e32 vcc, 0, v15
	v_cndmask_b32_e64 v15, 2, -2, vcc
	v_add_u32_e32 v15, v15, v6
                                        ; implicit-def: $vgpr6
; %bb.89:                               ;   in Loop: Header=BB18_43 Depth=3
	s_andn2_saveexec_b64 s[8:9], s[8:9]
; %bb.90:                               ;   in Loop: Header=BB18_43 Depth=3
	v_add_u32_e32 v15, -1, v6
; %bb.91:                               ;   in Loop: Header=BB18_43 Depth=3
	s_or_b64 exec, exec, s[8:9]
	ds_write_b32 v36, v15
.LBB18_92:                              ;   in Loop: Header=BB18_43 Depth=3
	s_or_b64 exec, exec, s[10:11]
	s_add_i32 s8, s27, 1
	s_cmp_eq_u32 s27, s80
	s_waitcnt lgkmcnt(0)
	s_barrier
	s_cbranch_scc1 .LBB18_40
; %bb.93:                               ;   in Loop: Header=BB18_43 Depth=3
	s_mov_b32 s27, s8
	s_branch .LBB18_43
.LBB18_94:                              ;   Parent Loop BB18_7 Depth=1
                                        ; =>  This Loop Header: Depth=2
                                        ;       Child Loop BB18_98 Depth 3
                                        ;         Child Loop BB18_100 Depth 4
                                        ;       Child Loop BB18_106 Depth 3
	s_and_saveexec_b64 s[10:11], s[0:1]
	s_cbranch_execz .LBB18_104
; %bb.95:                               ;   in Loop: Header=BB18_94 Depth=2
	v_mov_b32_e32 v18, 0
	v_mov_b32_e32 v19, 0
	s_and_saveexec_b64 s[12:13], s[4:5]
	s_cbranch_execz .LBB18_103
; %bb.96:                               ;   in Loop: Header=BB18_94 Depth=2
	v_mov_b32_e32 v18, 0
	v_mov_b32_e32 v21, v10
	;; [unrolled: 1-line block ×3, first 2 shown]
	s_mov_b64 s[14:15], 0
	v_mov_b32_e32 v20, v9
	v_mov_b32_e32 v6, v5
	s_branch .LBB18_98
.LBB18_97:                              ;   in Loop: Header=BB18_98 Depth=3
	s_or_b64 exec, exec, s[52:53]
	v_add_u32_e32 v6, s74, v6
	v_cmp_le_i32_e32 vcc, s22, v6
	v_mov_b32_e32 v15, s49
	s_or_b64 s[14:15], vcc, s[14:15]
	v_add_co_u32_e32 v20, vcc, s48, v20
	v_addc_co_u32_e32 v21, vcc, v21, v15, vcc
	s_andn2_b64 exec, exec, s[14:15]
	s_cbranch_execz .LBB18_102
.LBB18_98:                              ;   Parent Loop BB18_7 Depth=1
                                        ;     Parent Loop BB18_94 Depth=2
                                        ; =>    This Loop Header: Depth=3
                                        ;         Child Loop BB18_100 Depth 4
	v_cmp_lt_i32_e32 vcc, 0, v6
	s_and_saveexec_b64 s[52:53], vcc
	s_cbranch_execz .LBB18_97
; %bb.99:                               ;   in Loop: Header=BB18_98 Depth=3
	v_mov_b32_e32 v23, v21
	s_mov_b32 s19, 0
	s_mov_b64 s[54:55], 0
	v_mov_b32_e32 v22, v20
.LBB18_100:                             ;   Parent Loop BB18_7 Depth=1
                                        ;     Parent Loop BB18_94 Depth=2
                                        ;       Parent Loop BB18_98 Depth=3
                                        ; =>      This Inner Loop Header: Depth=4
	global_load_dwordx2 v[24:25], v[22:23], off
	s_add_i32 s19, s19, 1
	v_mov_b32_e32 v15, s51
	v_add_co_u32_e32 v22, vcc, s50, v22
	v_cmp_eq_u32_e64 s[8:9], s19, v6
	s_or_b64 s[54:55], s[8:9], s[54:55]
	v_addc_co_u32_e32 v23, vcc, v23, v15, vcc
	s_waitcnt vmcnt(0)
	v_mul_f64 v[24:25], v[24:25], v[24:25]
	v_fma_f64 v[18:19], v[24:25], 2.0, v[18:19]
	s_andn2_b64 exec, exec, s[54:55]
	s_cbranch_execnz .LBB18_100
; %bb.101:                              ;   in Loop: Header=BB18_98 Depth=3
	s_or_b64 exec, exec, s[54:55]
	s_branch .LBB18_97
.LBB18_102:                             ;   in Loop: Header=BB18_94 Depth=2
	s_or_b64 exec, exec, s[14:15]
.LBB18_103:                             ;   in Loop: Header=BB18_94 Depth=2
	s_or_b64 exec, exec, s[12:13]
	ds_write_b64 v30, v[18:19]
.LBB18_104:                             ;   in Loop: Header=BB18_94 Depth=2
	s_or_b64 exec, exec, s[10:11]
	v_mov_b32_e32 v18, 0
	s_andn2_b64 vcc, exec, s[42:43]
	v_mov_b32_e32 v19, 0
	s_waitcnt lgkmcnt(0)
	s_barrier
	s_cbranch_vccnz .LBB18_107
; %bb.105:                              ;   in Loop: Header=BB18_94 Depth=2
	s_mov_b32 s8, s74
	s_mov_b32 s9, s69
.LBB18_106:                             ;   Parent Loop BB18_7 Depth=1
                                        ;     Parent Loop BB18_94 Depth=2
                                        ; =>    This Inner Loop Header: Depth=3
	v_mov_b32_e32 v6, s9
	ds_read_b64 v[20:21], v6
	s_add_i32 s9, s9, 8
	s_add_i32 s8, s8, -1
	s_cmp_lg_u32 s8, 0
	s_waitcnt lgkmcnt(0)
	v_add_f64 v[18:19], v[18:19], v[20:21]
	s_cbranch_scc1 .LBB18_106
.LBB18_107:                             ;   in Loop: Header=BB18_94 Depth=2
	v_cmp_gt_f64_e32 vcc, v[18:19], v[7:8]
	s_add_i32 s10, s79, 1
	s_cmp_lt_u32 s79, 19
	s_cselect_b64 s[8:9], -1, 0
	s_and_b64 s[8:9], s[8:9], vcc
	s_and_b64 vcc, exec, s[8:9]
	s_cbranch_vccz .LBB18_109
; %bb.108:                              ;   in Loop: Header=BB18_94 Depth=2
	s_mov_b32 s79, s10
	s_andn2_b64 vcc, exec, s[44:45]
	s_cbranch_vccz .LBB18_39
	s_branch .LBB18_94
.LBB18_109:                             ;   in Loop: Header=BB18_7 Depth=1
	s_and_saveexec_b64 s[2:3], s[0:1]
	s_cbranch_execz .LBB18_5
; %bb.110:                              ;   in Loop: Header=BB18_7 Depth=1
	v_cmp_eq_u32_e32 vcc, 0, v5
	s_and_saveexec_b64 s[0:1], vcc
	s_cbranch_execz .LBB18_112
; %bb.111:                              ;   in Loop: Header=BB18_7 Depth=1
	v_cmp_gt_f64_e32 vcc, s[38:39], v[18:19]
	s_cmp_gt_u32 s10, 20
	s_cselect_b64 s[4:5], -1, 0
	s_min_u32 s10, s10, 20
	s_and_b64 s[8:9], vcc, exec
	s_cselect_b32 s8, 0x100, 0
	v_ldexp_f64 v[6:7], v[18:19], s8
	s_cselect_b32 s8, 0xffffff80, 0
	v_rsq_f64_e32 v[8:9], v[6:7]
	v_cmp_class_f64_e32 vcc, v[6:7], v26
	v_mul_f64 v[10:11], v[6:7], v[8:9]
	v_mul_f64 v[8:9], v[8:9], 0.5
	v_fma_f64 v[12:13], -v[8:9], v[10:11], 0.5
	v_fma_f64 v[10:11], v[10:11], v[12:13], v[10:11]
	v_fma_f64 v[8:9], v[8:9], v[12:13], v[8:9]
	v_fma_f64 v[12:13], -v[10:11], v[10:11], v[6:7]
	v_fma_f64 v[10:11], v[12:13], v[8:9], v[10:11]
	v_fma_f64 v[12:13], -v[10:11], v[10:11], v[6:7]
	v_fma_f64 v[8:9], v[12:13], v[8:9], v[10:11]
	v_cndmask_b32_e64 v11, 0, 1, s[4:5]
	v_ldexp_f64 v[9:10], v[8:9], s8
	v_mov_b32_e32 v8, s10
	v_cndmask_b32_e32 v7, v10, v7, vcc
	v_cndmask_b32_e32 v6, v9, v6, vcc
	global_store_dwordx3 v1, v[6:8], s[16:17]
	global_store_dword v1, v11, s[20:21]
.LBB18_112:                             ;   in Loop: Header=BB18_7 Depth=1
	s_or_b64 exec, exec, s[0:1]
	v_cmp_gt_i32_e32 vcc, s22, v5
	s_and_b64 exec, exec, vcc
	s_cbranch_execz .LBB18_5
; %bb.113:                              ;   in Loop: Header=BB18_7 Depth=1
	s_add_i32 s8, s22, 1
	v_ashrrev_i32_e32 v6, 31, v5
	s_add_u32 s0, s63, s24
	v_lshlrev_b64 v[6:7], 3, v[5:6]
	s_addc_u32 s1, s64, s25
	s_ashr_i32 s41, s40, 31
	v_mov_b32_e32 v8, s40
	s_ashr_i32 s27, s26, 31
	v_mov_b32_e32 v9, s41
	v_mov_b32_e32 v10, s1
	v_cmp_lt_i64_e32 vcc, s[26:27], v[8:9]
	v_add_co_u32_e64 v6, s[0:1], s0, v6
	v_mad_u64_u32 v[8:9], s[4:5], v5, s22, v[5:6]
	v_addc_co_u32_e64 v7, s[0:1], v10, v7, s[0:1]
	s_and_b64 s[0:1], vcc, exec
	s_cselect_b32 s1, s27, s41
	s_cselect_b32 s0, s26, s40
	s_lshl_b64 s[0:1], s[0:1], 3
	s_mul_i32 s8, s74, s8
	s_mov_b64 s[4:5], 0
.LBB18_114:                             ;   Parent Loop BB18_7 Depth=1
                                        ; =>  This Inner Loop Header: Depth=2
	v_ashrrev_i32_e32 v9, 31, v8
	v_lshlrev_b64 v[9:10], 3, v[8:9]
	v_mov_b32_e32 v11, s76
	v_add_co_u32_e32 v9, vcc, s75, v9
	v_addc_co_u32_e32 v10, vcc, v11, v10, vcc
	global_load_dwordx2 v[9:10], v[9:10], off
	v_add_u32_e32 v5, s74, v5
	v_cmp_le_i32_e32 vcc, s22, v5
	v_mov_b32_e32 v11, s1
	s_or_b64 s[4:5], vcc, s[4:5]
	v_add_u32_e32 v8, s8, v8
	s_waitcnt vmcnt(0)
	global_store_dwordx2 v[6:7], v[9:10], off
	v_add_co_u32_e32 v6, vcc, s0, v6
	v_addc_co_u32_e32 v7, vcc, v7, v11, vcc
	s_andn2_b64 exec, exec, s[4:5]
	s_cbranch_execnz .LBB18_114
	s_branch .LBB18_5
.LBB18_115:
	s_endpgm
.LBB18_116:
                                        ; implicit-def: $sgpr28_sgpr29
	s_branch .LBB18_2
	.section	.rodata,"a",@progbits
	.p2align	6, 0x0
	.amdhsa_kernel _ZN9rocsolver6v33100L19stedcj_solve_kernelIdEEviPT_lS3_lS3_iilPiS3_S4_S2_S2_S2_
		.amdhsa_group_segment_fixed_size 0
		.amdhsa_private_segment_fixed_size 0
		.amdhsa_kernarg_size 112
		.amdhsa_user_sgpr_count 6
		.amdhsa_user_sgpr_private_segment_buffer 1
		.amdhsa_user_sgpr_dispatch_ptr 0
		.amdhsa_user_sgpr_queue_ptr 0
		.amdhsa_user_sgpr_kernarg_segment_ptr 1
		.amdhsa_user_sgpr_dispatch_id 0
		.amdhsa_user_sgpr_flat_scratch_init 0
		.amdhsa_user_sgpr_private_segment_size 0
		.amdhsa_uses_dynamic_stack 0
		.amdhsa_system_sgpr_private_segment_wavefront_offset 0
		.amdhsa_system_sgpr_workgroup_id_x 1
		.amdhsa_system_sgpr_workgroup_id_y 1
		.amdhsa_system_sgpr_workgroup_id_z 1
		.amdhsa_system_sgpr_workgroup_info 0
		.amdhsa_system_vgpr_workitem_id 0
		.amdhsa_next_free_vgpr 46
		.amdhsa_next_free_sgpr 88
		.amdhsa_reserve_vcc 1
		.amdhsa_reserve_flat_scratch 0
		.amdhsa_float_round_mode_32 0
		.amdhsa_float_round_mode_16_64 0
		.amdhsa_float_denorm_mode_32 3
		.amdhsa_float_denorm_mode_16_64 3
		.amdhsa_dx10_clamp 1
		.amdhsa_ieee_mode 1
		.amdhsa_fp16_overflow 0
		.amdhsa_exception_fp_ieee_invalid_op 0
		.amdhsa_exception_fp_denorm_src 0
		.amdhsa_exception_fp_ieee_div_zero 0
		.amdhsa_exception_fp_ieee_overflow 0
		.amdhsa_exception_fp_ieee_underflow 0
		.amdhsa_exception_fp_ieee_inexact 0
		.amdhsa_exception_int_div_zero 0
	.end_amdhsa_kernel
	.section	.text._ZN9rocsolver6v33100L19stedcj_solve_kernelIdEEviPT_lS3_lS3_iilPiS3_S4_S2_S2_S2_,"axG",@progbits,_ZN9rocsolver6v33100L19stedcj_solve_kernelIdEEviPT_lS3_lS3_iilPiS3_S4_S2_S2_S2_,comdat
.Lfunc_end18:
	.size	_ZN9rocsolver6v33100L19stedcj_solve_kernelIdEEviPT_lS3_lS3_iilPiS3_S4_S2_S2_S2_, .Lfunc_end18-_ZN9rocsolver6v33100L19stedcj_solve_kernelIdEEviPT_lS3_lS3_iilPiS3_S4_S2_S2_S2_
                                        ; -- End function
	.set _ZN9rocsolver6v33100L19stedcj_solve_kernelIdEEviPT_lS3_lS3_iilPiS3_S4_S2_S2_S2_.num_vgpr, 46
	.set _ZN9rocsolver6v33100L19stedcj_solve_kernelIdEEviPT_lS3_lS3_iilPiS3_S4_S2_S2_S2_.num_agpr, 0
	.set _ZN9rocsolver6v33100L19stedcj_solve_kernelIdEEviPT_lS3_lS3_iilPiS3_S4_S2_S2_S2_.numbered_sgpr, 88
	.set _ZN9rocsolver6v33100L19stedcj_solve_kernelIdEEviPT_lS3_lS3_iilPiS3_S4_S2_S2_S2_.num_named_barrier, 0
	.set _ZN9rocsolver6v33100L19stedcj_solve_kernelIdEEviPT_lS3_lS3_iilPiS3_S4_S2_S2_S2_.private_seg_size, 0
	.set _ZN9rocsolver6v33100L19stedcj_solve_kernelIdEEviPT_lS3_lS3_iilPiS3_S4_S2_S2_S2_.uses_vcc, 1
	.set _ZN9rocsolver6v33100L19stedcj_solve_kernelIdEEviPT_lS3_lS3_iilPiS3_S4_S2_S2_S2_.uses_flat_scratch, 0
	.set _ZN9rocsolver6v33100L19stedcj_solve_kernelIdEEviPT_lS3_lS3_iilPiS3_S4_S2_S2_S2_.has_dyn_sized_stack, 0
	.set _ZN9rocsolver6v33100L19stedcj_solve_kernelIdEEviPT_lS3_lS3_iilPiS3_S4_S2_S2_S2_.has_recursion, 0
	.set _ZN9rocsolver6v33100L19stedcj_solve_kernelIdEEviPT_lS3_lS3_iilPiS3_S4_S2_S2_S2_.has_indirect_call, 0
	.section	.AMDGPU.csdata,"",@progbits
; Kernel info:
; codeLenInByte = 6128
; TotalNumSgprs: 92
; NumVgprs: 46
; ScratchSize: 0
; MemoryBound: 0
; FloatMode: 240
; IeeeMode: 1
; LDSByteSize: 0 bytes/workgroup (compile time only)
; SGPRBlocks: 11
; VGPRBlocks: 11
; NumSGPRsForWavesPerEU: 92
; NumVGPRsForWavesPerEU: 46
; Occupancy: 5
; WaveLimiterHint : 1
; COMPUTE_PGM_RSRC2:SCRATCH_EN: 0
; COMPUTE_PGM_RSRC2:USER_SGPR: 6
; COMPUTE_PGM_RSRC2:TRAP_HANDLER: 0
; COMPUTE_PGM_RSRC2:TGID_X_EN: 1
; COMPUTE_PGM_RSRC2:TGID_Y_EN: 1
; COMPUTE_PGM_RSRC2:TGID_Z_EN: 1
; COMPUTE_PGM_RSRC2:TIDIG_COMP_CNT: 0
	.section	.text._ZN9rocsolver6v33100L26stedcj_mergePrepare_kernelIdEEviiPT_lS3_lS3_iilS3_S3_PiS2_,"axG",@progbits,_ZN9rocsolver6v33100L26stedcj_mergePrepare_kernelIdEEviiPT_lS3_lS3_iilS3_S3_PiS2_,comdat
	.globl	_ZN9rocsolver6v33100L26stedcj_mergePrepare_kernelIdEEviiPT_lS3_lS3_iilS3_S3_PiS2_ ; -- Begin function _ZN9rocsolver6v33100L26stedcj_mergePrepare_kernelIdEEviiPT_lS3_lS3_iilS3_S3_PiS2_
	.p2align	8
	.type	_ZN9rocsolver6v33100L26stedcj_mergePrepare_kernelIdEEviiPT_lS3_lS3_iilS3_S3_PiS2_,@function
_ZN9rocsolver6v33100L26stedcj_mergePrepare_kernelIdEEviiPT_lS3_lS3_iilS3_S3_PiS2_: ; @_ZN9rocsolver6v33100L26stedcj_mergePrepare_kernelIdEEviiPT_lS3_lS3_iilS3_S3_PiS2_
; %bb.0:
	s_load_dwordx4 s[20:23], s[4:5], 0x28
	s_load_dwordx8 s[12:19], s[4:5], 0x38
	s_load_dwordx2 s[10:11], s[4:5], 0x58
	s_mov_b32 s24, s7
	s_mov_b64 s[0:1], 0
	s_waitcnt lgkmcnt(0)
	s_cmp_lg_u64 s[20:21], 0
	s_cbranch_scc0 .LBB19_82
; %bb.1:
	s_ashr_i32 s2, s8, 31
	s_mul_hi_u32 s3, s12, s8
	s_mul_i32 s7, s12, s2
	s_add_i32 s3, s3, s7
	s_mul_i32 s7, s13, s8
	s_add_i32 s13, s3, s7
	s_mul_i32 s12, s12, s8
	s_ashr_i32 s27, s22, 31
	s_lshl_b64 s[12:13], s[12:13], 3
	s_mov_b32 s26, s22
	s_add_u32 s3, s20, s12
	s_addc_u32 s7, s21, s13
	s_lshl_b64 s[12:13], s[26:27], 3
	s_add_u32 s12, s3, s12
	s_addc_u32 s13, s7, s13
	s_andn2_b64 vcc, exec, s[0:1]
	s_cbranch_vccnz .LBB19_3
.LBB19_2:
	s_ashr_i32 s2, s8, 31
                                        ; implicit-def: $sgpr12_sgpr13
.LBB19_3:
	s_load_dwordx2 s[20:21], s[4:5], 0x0
	s_waitcnt lgkmcnt(0)
	s_mul_i32 s0, s21, 5
	s_add_i32 s0, s0, 2
	s_mul_i32 s0, s0, s8
	s_ashr_i32 s1, s0, 31
	s_lshl_b64 s[34:35], s[0:1], 2
	s_add_u32 s7, s18, s34
	s_addc_u32 s22, s19, s35
	s_ashr_i32 s37, s21, 31
	s_mov_b32 s36, s21
	s_lshl_b64 s[30:31], s[36:37], 2
	s_add_u32 s26, s7, s30
	s_addc_u32 s27, s22, s31
	s_load_dword s33, s[26:27], 0x4
	s_waitcnt lgkmcnt(0)
	s_cmp_ge_i32 s24, s33
	s_cbranch_scc1 .LBB19_81
; %bb.4:
	s_load_dwordx8 s[40:47], s[4:5], 0x8
	v_lshlrev_b32_e32 v3, 3, v0
	s_load_dword s4, s[4:5], 0x6c
	v_add_u32_e32 v28, 0, v3
	v_mov_b32_e32 v33, 0x260
	s_waitcnt lgkmcnt(0)
	s_mul_i32 s1, s42, s2
	s_mul_hi_u32 s3, s42, s8
	s_mul_i32 s9, s43, s8
	s_add_i32 s1, s3, s1
	s_mul_i32 s0, s42, s8
	s_add_i32 s1, s1, s9
	s_lshl_b64 s[0:1], s[0:1], 3
	s_mul_i32 s2, s46, s2
	s_add_u32 s48, s40, s0
	s_mul_hi_u32 s0, s46, s8
	s_addc_u32 s49, s41, s1
	s_add_i32 s0, s0, s2
	s_mul_i32 s1, s47, s8
	s_add_i32 s1, s0, s1
	s_mul_i32 s0, s46, s8
	s_lshl_b64 s[0:1], s[0:1], 3
	s_add_u32 s50, s44, s0
	s_addc_u32 s51, s45, s1
	s_add_u32 s52, s26, s30
	s_addc_u32 s53, s27, s31
	;; [unrolled: 2-line block ×4, first 2 shown]
	s_lshl_b32 s2, s8, 1
	s_mul_i32 s0, s2, s21
	s_ashr_i32 s1, s0, 31
	s_lshl_b64 s[0:1], s[0:1], 3
	s_add_u32 s58, s14, s0
	s_mul_i32 s0, s21, s21
	s_mul_i32 s2, s2, s0
	s_addc_u32 s59, s15, s1
	s_ashr_i32 s3, s2, 31
	s_lshl_b64 s[2:3], s[2:3], 3
	s_add_u32 s2, s16, s2
	s_mov_b32 s1, 0
	s_addc_u32 s3, s17, s3
	s_lshl_b64 s[0:1], s[0:1], 3
	s_add_u32 s60, s2, s0
	s_addc_u32 s61, s3, s1
	s_bfe_u32 s65, s4, 0xf0001
	v_cvt_f32_u32_e32 v1, s65
	s_and_b32 s62, s4, 0xffff
	s_lshl_b32 s0, s62, 3
	s_add_i32 s63, s0, 0
	v_rcp_iflag_f32_e32 v1, v1
	s_not_b32 s64, s20
	s_lshl_b32 s0, 1, s20
	s_lshl_b32 s70, 2, s20
	s_mul_i32 s8, s70, s6
	s_cmp_gt_i32 s0, 1
	v_mul_f32_e32 v1, 0x4f7ffffe, v1
	s_cselect_b64 s[14:15], -1, 0
	s_ashr_i32 s9, s8, 31
	v_cvt_u32_f32_e32 v1, v1
	s_cmp_gt_i32 s70, 1
	s_cselect_b64 s[16:17], -1, 0
	s_cmp_gt_i32 s21, 0
	s_cselect_b64 s[28:29], -1, 0
	s_sub_i32 s0, 0, s65
	v_mul_lo_u32 v2, s0, v1
	v_add_u32_e32 v29, s63, v3
	v_cmp_gt_u32_e64 s[0:1], s65, v0
	v_cmp_le_u32_e64 s[2:3], s65, v0
	v_mul_hi_u32 v2, v1, v2
	v_cmp_eq_u32_e64 s[4:5], 0, v0
	s_mul_i32 s67, s23, s65
	v_mov_b32_e32 v34, 0x100
	v_add_u32_e32 v1, v1, v2
	v_mul_hi_u32 v1, v0, v1
	v_mov_b32_e32 v35, 0xffffff80
	v_mul_lo_u32 v2, v1, s65
	v_add_u32_e32 v4, 1, v1
	v_sub_u32_e32 v2, v0, v2
	v_cmp_le_u32_e32 vcc, s65, v2
	v_cndmask_b32_e32 v1, v1, v4, vcc
	v_subrev_u32_e32 v4, s65, v2
	v_cndmask_b32_e32 v2, v2, v4, vcc
	v_add_u32_e32 v4, 1, v1
	v_cmp_le_u32_e32 vcc, s65, v2
	v_cndmask_b32_e32 v4, v1, v4, vcc
	v_lshlrev_b32_e32 v3, s20, v4
	v_add_u32_e32 v3, s8, v3
	v_mul_lo_u32 v5, v4, s65
	v_ldexp_f64 v[1:2], s[10:11], 3
	v_ashrrev_i32_e32 v4, 31, v3
	s_add_u32 s10, s30, s34
	s_addc_u32 s11, s31, s35
	v_lshlrev_b64 v[3:4], 2, v[3:4]
	s_add_u32 s25, s18, s10
	s_addc_u32 s30, s19, s11
	v_add_co_u32_e32 v6, vcc, s25, v3
	s_lshl_b32 s25, s62, 2
	v_sub_u32_e32 v30, v0, v5
	v_mov_b32_e32 v5, s30
	s_and_b32 s66, s25, 0x3fff8
	s_lshl_b64 s[30:31], s[8:9], 2
	s_add_u32 s8, s10, s30
	s_addc_u32 s9, s11, s31
	s_add_u32 s8, s18, s8
	s_addc_u32 s9, s19, s9
	;; [unrolled: 2-line block ×3, first 2 shown]
	s_add_i32 s70, s70, -1
	s_mul_i32 s9, s36, 12
	s_mul_hi_i32 s8, s36, 12
	s_add_u32 s9, s9, s34
	s_addc_u32 s8, s8, s35
	s_add_u32 s9, s18, s9
	v_addc_co_u32_e32 v5, vcc, v5, v4, vcc
	s_addc_u32 s8, s19, s8
	v_add_co_u32_e32 v31, vcc, 12, v6
	s_add_u32 s71, s9, 8
	s_mov_b32 s18, 0x667f3bcd
	s_mov_b32 s34, 0
	v_addc_co_u32_e32 v32, vcc, 0, v5, vcc
	s_bfm_b32 s20, s20, 0
	s_addc_u32 s72, s8, 0
	v_mov_b32_e32 v5, 0
	s_mov_b32 s19, 0x3ff6a09e
	s_brev_b32 s35, 8
	s_branch .LBB19_6
.LBB19_5:                               ;   in Loop: Header=BB19_6 Depth=1
	s_add_i32 s24, s24, 8
	s_cmp_ge_i32 s24, s33
	s_cbranch_scc1 .LBB19_81
.LBB19_6:                               ; =>This Loop Header: Depth=1
                                        ;     Child Loop BB19_14 Depth 2
                                        ;     Child Loop BB19_21 Depth 2
	;; [unrolled: 1-line block ×7, first 2 shown]
                                        ;       Child Loop BB19_41 Depth 3
                                        ;         Child Loop BB19_72 Depth 4
                                        ;     Child Loop BB19_77 Depth 2
	s_ashr_i32 s25, s24, 31
	s_lshl_b64 s[8:9], s[24:25], 2
	s_add_u32 s8, s7, s8
	s_addc_u32 s9, s22, s9
	s_waitcnt vmcnt(0)
	s_barrier
	global_load_dwordx2 v[6:7], v5, s[8:9]
	s_mov_b32 s10, 0
	s_waitcnt vmcnt(0)
	v_readfirstlane_b32 s8, v6
	v_readfirstlane_b32 s9, v7
	s_sub_i32 s9, s9, s8
	s_cmp_lt_i32 s9, 3
	s_cbranch_scc1 .LBB19_11
; %bb.7:                                ;   in Loop: Header=BB19_6 Depth=1
	s_cmp_lt_u32 s9, 5
	s_mov_b32 s10, 1
	s_cbranch_scc1 .LBB19_11
; %bb.8:                                ;   in Loop: Header=BB19_6 Depth=1
	s_cmp_lt_u32 s9, 33
	s_mov_b32 s10, 2
	s_cbranch_scc1 .LBB19_11
; %bb.9:                                ;   in Loop: Header=BB19_6 Depth=1
	s_cmpk_lt_u32 s9, 0xe9
	s_mov_b32 s10, 4
	s_cbranch_scc1 .LBB19_11
; %bb.10:                               ;   in Loop: Header=BB19_6 Depth=1
	s_cmpk_lt_u32 s9, 0x128
	s_cselect_b32 s10, 5, 7
	s_cmpk_lt_u32 s9, 0x79b
	s_cselect_b32 s10, s10, 8
.LBB19_11:                              ;   in Loop: Header=BB19_6 Depth=1
	s_add_i32 s9, s10, s64
	s_lshl_b32 s10, 1, s9
	s_cmp_gt_i32 s9, -1
	s_cselect_b32 s9, s10, 0
	s_cmp_ge_i32 s6, s9
	s_cbranch_scc1 .LBB19_5
; %bb.12:                               ;   in Loop: Header=BB19_6 Depth=1
	s_ashr_i32 s9, s8, 31
	s_lshl_b64 s[36:37], s[8:9], 2
	s_add_u32 s25, s26, s36
	s_addc_u32 s44, s27, s37
	s_add_u32 s42, s52, s36
	s_addc_u32 s43, s53, s37
	v_mov_b32_e32 v7, s43
	v_add_co_u32_e32 v6, vcc, s42, v3
	v_addc_co_u32_e32 v7, vcc, v7, v4, vcc
	v_mov_b32_e32 v9, s44
	v_add_co_u32_e32 v8, vcc, s25, v3
	v_addc_co_u32_e32 v9, vcc, v9, v4, vcc
	global_load_dword v14, v[6:7], off offset:8
	s_nop 0
	global_load_dword v8, v[8:9], off offset:8
	s_andn2_b64 vcc, exec, s[14:15]
	s_cbranch_vccnz .LBB19_15
; %bb.13:                               ;   in Loop: Header=BB19_6 Depth=1
	v_mov_b32_e32 v7, s37
	v_add_co_u32_e32 v6, vcc, s36, v31
	v_addc_co_u32_e32 v7, vcc, v32, v7, vcc
	s_mov_b32 s8, s20
.LBB19_14:                              ;   Parent Loop BB19_6 Depth=1
                                        ; =>  This Inner Loop Header: Depth=2
	global_load_dword v9, v[6:7], off
	v_add_co_u32_e32 v6, vcc, 4, v6
	s_add_i32 s8, s8, -1
	v_addc_co_u32_e32 v7, vcc, 0, v7, vcc
	s_cmp_eq_u32 s8, 0
	s_waitcnt vmcnt(0)
	v_add_u32_e32 v8, v9, v8
	s_cbranch_scc0 .LBB19_14
.LBB19_15:                              ;   in Loop: Header=BB19_6 Depth=1
	s_waitcnt vmcnt(1)
	v_ashrrev_i32_e32 v15, 31, v14
                                        ; implicit-def: $vgpr6_vgpr7
	s_and_saveexec_b64 s[8:9], s[2:3]
	s_xor_b64 s[8:9], exec, s[8:9]
; %bb.16:                               ;   in Loop: Header=BB19_6 Depth=1
	v_lshlrev_b64 v[6:7], 3, v[14:15]
	v_mov_b32_e32 v9, s51
	v_add_co_u32_e32 v6, vcc, s50, v6
	v_addc_co_u32_e32 v7, vcc, v9, v7, vcc
	v_add_co_u32_e32 v6, vcc, -8, v6
	v_addc_co_u32_e32 v7, vcc, -1, v7, vcc
; %bb.17:                               ;   in Loop: Header=BB19_6 Depth=1
	s_or_saveexec_b64 s[8:9], s[8:9]
	s_waitcnt vmcnt(0)
	v_ashrrev_i32_e32 v9, 31, v8
	s_xor_b64 exec, exec, s[8:9]
; %bb.18:                               ;   in Loop: Header=BB19_6 Depth=1
	v_add_co_u32_e32 v6, vcc, v14, v8
	v_addc_co_u32_e32 v7, vcc, v15, v9, vcc
	v_lshlrev_b64 v[6:7], 3, v[6:7]
	v_mov_b32_e32 v10, s51
	v_add_co_u32_e32 v6, vcc, s50, v6
	v_addc_co_u32_e32 v7, vcc, v10, v7, vcc
	v_add_co_u32_e32 v6, vcc, -8, v6
	v_addc_co_u32_e32 v7, vcc, -1, v7, vcc
; %bb.19:                               ;   in Loop: Header=BB19_6 Depth=1
	s_or_b64 exec, exec, s[8:9]
	global_load_dwordx2 v[6:7], v[6:7], off
	v_mov_b32_e32 v10, 0
	v_mov_b32_e32 v12, 0
	;; [unrolled: 1-line block ×4, first 2 shown]
	v_cmp_lt_i32_e32 vcc, v30, v8
	s_and_saveexec_b64 s[38:39], vcc
	s_cbranch_execz .LBB19_25
; %bb.20:                               ;   in Loop: Header=BB19_6 Depth=1
	v_lshlrev_b64 v[10:11], 3, v[14:15]
	v_mov_b32_e32 v12, s13
	v_add_co_u32_e32 v15, vcc, s12, v10
	v_lshlrev_b64 v[9:10], 3, v[8:9]
	v_addc_co_u32_e32 v11, vcc, v12, v11, vcc
	v_add_co_u32_e32 v9, vcc, v15, v9
	v_addc_co_u32_e32 v10, vcc, v11, v10, vcc
	v_add_co_u32_e32 v9, vcc, -8, v9
	v_addc_co_u32_e32 v10, vcc, -1, v10, vcc
	v_cndmask_b32_e64 v16, v15, v9, s[0:1]
	v_add_u32_e32 v9, v30, v14
	v_cndmask_b32_e64 v13, v11, v10, s[0:1]
	v_ashrrev_i32_e32 v10, 31, v9
	v_lshlrev_b64 v[14:15], 3, v[9:10]
	v_mul_lo_u32 v9, s23, v9
	v_mov_b32_e32 v10, s59
	v_add_co_u32_e32 v11, vcc, s58, v14
	v_addc_co_u32_e32 v12, vcc, v10, v15, vcc
	s_mov_b64 s[8:9], 0
	v_mov_b32_e32 v17, v30
.LBB19_21:                              ;   Parent Loop BB19_6 Depth=1
                                        ; =>  This Inner Loop Header: Depth=2
	v_ashrrev_i32_e32 v10, 31, v9
	v_lshlrev_b64 v[18:19], 3, v[9:10]
	v_add_u32_e32 v17, s65, v17
	v_add_co_u32_e32 v18, vcc, v16, v18
	v_addc_co_u32_e32 v19, vcc, v13, v19, vcc
	global_load_dwordx2 v[18:19], v[18:19], off
	v_add_u32_e32 v9, s67, v9
	s_waitcnt vmcnt(0)
	v_div_scale_f64 v[20:21], s[10:11], s[18:19], s[18:19], v[18:19]
	v_rcp_f64_e32 v[22:23], v[20:21]
	v_fma_f64 v[24:25], -v[20:21], v[22:23], 1.0
	v_fma_f64 v[22:23], v[22:23], v[24:25], v[22:23]
	v_div_scale_f64 v[24:25], vcc, v[18:19], s[18:19], v[18:19]
	v_fma_f64 v[26:27], -v[20:21], v[22:23], 1.0
	v_fma_f64 v[22:23], v[22:23], v[26:27], v[22:23]
	v_mul_f64 v[26:27], v[24:25], v[22:23]
	v_fma_f64 v[20:21], -v[20:21], v[26:27], v[24:25]
	v_div_fmas_f64 v[20:21], v[20:21], v[22:23], v[26:27]
	v_cmp_ge_i32_e32 vcc, v17, v8
	s_or_b64 s[8:9], vcc, s[8:9]
	v_div_fixup_f64 v[18:19], v[20:21], s[18:19], v[18:19]
	global_store_dwordx2 v[11:12], v[18:19], off
	v_add_co_u32_e32 v11, vcc, s66, v11
	v_addc_co_u32_e32 v12, vcc, 0, v12, vcc
	s_andn2_b64 exec, exec, s[8:9]
	s_cbranch_execnz .LBB19_21
; %bb.22:                               ;   in Loop: Header=BB19_6 Depth=1
	s_or_b64 exec, exec, s[8:9]
	v_mov_b32_e32 v10, 0
	v_mov_b32_e32 v12, 0
	;; [unrolled: 1-line block ×3, first 2 shown]
	s_mov_b64 s[40:41], 0
	v_mov_b32_e32 v13, 0
	v_mov_b32_e32 v9, v30
.LBB19_23:                              ;   Parent Loop BB19_6 Depth=1
                                        ; =>  This Inner Loop Header: Depth=2
	v_mov_b32_e32 v17, s49
	v_mov_b32_e32 v20, s59
	v_add_co_u32_e32 v16, vcc, s58, v14
	v_add_co_u32_e64 v18, s[8:9], s48, v14
	v_addc_co_u32_e64 v19, s[8:9], v17, v15, s[8:9]
	v_addc_co_u32_e32 v17, vcc, v20, v15, vcc
	global_load_dwordx2 v[18:19], v[18:19], off
	s_nop 0
	global_load_dwordx2 v[16:17], v[16:17], off
	v_add_co_u32_e32 v14, vcc, s66, v14
	v_add_u32_e32 v9, s65, v9
	v_addc_co_u32_e32 v15, vcc, 0, v15, vcc
	v_cmp_ge_i32_e32 vcc, v9, v8
	s_or_b64 s[40:41], vcc, s[40:41]
	s_waitcnt vmcnt(1)
	v_cmp_gt_f64_e64 s[8:9], |v[18:19]|, v[12:13]
	s_waitcnt vmcnt(0)
	v_cmp_gt_f64_e64 s[10:11], |v[16:17]|, v[10:11]
	v_and_b32_e32 v20, 0x7fffffff, v19
	v_and_b32_e32 v21, 0x7fffffff, v17
	v_cndmask_b32_e64 v13, v13, v20, s[8:9]
	v_cndmask_b32_e64 v11, v11, v21, s[10:11]
	;; [unrolled: 1-line block ×4, first 2 shown]
	s_andn2_b64 exec, exec, s[40:41]
	s_cbranch_execnz .LBB19_23
; %bb.24:                               ;   in Loop: Header=BB19_6 Depth=1
	s_or_b64 exec, exec, s[40:41]
.LBB19_25:                              ;   in Loop: Header=BB19_6 Depth=1
	s_or_b64 exec, exec, s[38:39]
	s_mov_b32 s38, s65
	ds_write_b64 v28, v[12:13]
	ds_write_b64 v29, v[10:11]
	s_waitcnt vmcnt(0) lgkmcnt(0)
	s_barrier
	s_branch .LBB19_27
.LBB19_26:                              ;   in Loop: Header=BB19_27 Depth=2
	s_or_b64 exec, exec, s[10:11]
	s_lshr_b32 s8, s38, 1
	s_cmp_gt_u32 s38, 1
	s_mov_b32 s38, s8
	s_waitcnt lgkmcnt(0)
	s_barrier
	s_cbranch_scc0 .LBB19_29
.LBB19_27:                              ;   Parent Loop BB19_6 Depth=1
                                        ; =>  This Inner Loop Header: Depth=2
	v_cmp_gt_u32_e32 vcc, s38, v0
	s_and_saveexec_b64 s[10:11], vcc
	s_cbranch_execz .LBB19_26
; %bb.28:                               ;   in Loop: Header=BB19_27 Depth=2
	s_lshl_b32 s8, s38, 3
	v_add_u32_e32 v8, s8, v28
	v_add_u32_e32 v14, s8, v29
	ds_read_b64 v[8:9], v8
	ds_read_b64 v[14:15], v14
	s_waitcnt lgkmcnt(1)
	v_cmp_gt_f64_e32 vcc, v[8:9], v[12:13]
	s_waitcnt lgkmcnt(0)
	v_cmp_gt_f64_e64 s[8:9], v[14:15], v[10:11]
	v_cndmask_b32_e32 v13, v13, v9, vcc
	v_cndmask_b32_e64 v11, v11, v15, s[8:9]
	v_cndmask_b32_e32 v12, v12, v8, vcc
	v_cndmask_b32_e64 v10, v10, v14, s[8:9]
	ds_write_b64 v28, v[12:13]
	ds_write_b64 v29, v[10:11]
	s_branch .LBB19_26
.LBB19_29:                              ;   in Loop: Header=BB19_6 Depth=1
	s_add_u32 s8, s25, s30
	s_addc_u32 s9, s44, s31
	global_load_dword v8, v5, s[8:9] offset:8
	v_mov_b32_e32 v11, s63
	ds_read_b64 v[9:10], v5
	ds_read_b64 v[11:12], v11
	s_andn2_b64 vcc, exec, s[16:17]
	s_waitcnt vmcnt(0)
	v_readfirstlane_b32 s25, v8
	s_cbranch_vccnz .LBB19_32
; %bb.30:                               ;   in Loop: Header=BB19_6 Depth=1
	s_add_u32 s8, s68, s36
	s_addc_u32 s9, s69, s37
	s_mov_b32 s10, s70
.LBB19_31:                              ;   Parent Loop BB19_6 Depth=1
                                        ; =>  This Inner Loop Header: Depth=2
	global_load_dword v8, v5, s[8:9]
	s_waitcnt vmcnt(0)
	v_readfirstlane_b32 s11, v8
	s_add_i32 s25, s11, s25
	s_add_u32 s8, s8, 4
	s_addc_u32 s9, s9, 0
	s_add_i32 s10, s10, -1
	s_cmp_eq_u32 s10, 0
	s_cbranch_scc0 .LBB19_31
.LBB19_32:                              ;   in Loop: Header=BB19_6 Depth=1
	s_add_u32 s8, s42, s30
	s_addc_u32 s9, s43, s31
	global_load_dword v13, v5, s[8:9] offset:8
	s_waitcnt lgkmcnt(0)
	v_cmp_gt_f64_e32 vcc, v[11:12], v[9:10]
	v_add_f64 v[7:8], v[6:7], v[6:7]
	v_cndmask_b32_e32 v10, v10, v12, vcc
	v_cndmask_b32_e32 v9, v9, v11, vcc
	v_mul_f64 v[9:10], v[1:2], v[9:10]
	v_cmp_gt_i32_e32 vcc, s25, v0
	s_waitcnt vmcnt(0)
	v_readfirstlane_b32 s36, v13
	s_and_saveexec_b64 s[8:9], vcc
	s_cbranch_execz .LBB19_35
; %bb.33:                               ;   in Loop: Header=BB19_6 Depth=1
	s_mov_b64 s[10:11], 0
	v_mov_b32_e32 v6, v0
.LBB19_34:                              ;   Parent Loop BB19_6 Depth=1
                                        ; =>  This Inner Loop Header: Depth=2
	v_add_u32_e32 v11, s36, v6
	v_ashrrev_i32_e32 v12, 31, v11
	v_lshlrev_b64 v[13:14], 3, v[11:12]
	v_mov_b32_e32 v15, s59
	v_add_co_u32_e32 v13, vcc, s58, v13
	v_addc_co_u32_e32 v14, vcc, v15, v14, vcc
	global_load_dwordx2 v[13:14], v[13:14], off
	v_add_u32_e32 v6, s62, v6
	v_lshlrev_b64 v[11:12], 2, v[11:12]
	v_cmp_le_i32_e32 vcc, s25, v6
	v_mov_b32_e32 v15, s55
	s_or_b64 s[10:11], vcc, s[10:11]
	v_add_co_u32_e32 v11, vcc, s54, v11
	v_addc_co_u32_e32 v12, vcc, v15, v12, vcc
	s_waitcnt vmcnt(0)
	v_mul_f64 v[13:14], v[7:8], v[13:14]
	v_cmp_nle_f64_e64 s[38:39], |v[13:14]|, v[9:10]
	v_cndmask_b32_e64 v13, 0, 1, s[38:39]
	global_store_dword v[11:12], v13, off offset:8
	s_andn2_b64 exec, exec, s[10:11]
	s_cbranch_execnz .LBB19_34
.LBB19_35:                              ;   in Loop: Header=BB19_6 Depth=1
	s_or_b64 exec, exec, s[8:9]
	s_and_b32 s8, s25, 0x80000001
	s_cmp_eq_u32 s8, 1
	s_cselect_b64 s[8:9], -1, 0
	s_cmp_lg_u64 s[8:9], 0
	s_addc_u32 s37, s25, 0
	s_cmp_lt_i32 s37, 2
	s_waitcnt vmcnt(0)
	s_barrier
	s_cbranch_scc1 .LBB19_73
; %bb.36:                               ;   in Loop: Header=BB19_6 Depth=1
	s_lshr_b32 s8, s37, 31
	s_add_i32 s8, s37, s8
	s_ashr_i32 s73, s8, 1
	s_add_i32 s74, s37, -1
	v_cmp_gt_i32_e64 s[8:9], s73, v0
	s_add_i32 s75, s73, -1
	s_add_i32 s76, s37, -2
	s_mov_b32 s77, 0
	s_branch .LBB19_38
.LBB19_37:                              ;   in Loop: Header=BB19_38 Depth=2
	s_or_b64 exec, exec, s[38:39]
	s_add_i32 s77, s77, 1
	s_cmp_eq_u32 s77, s74
	s_cbranch_scc1 .LBB19_73
.LBB19_38:                              ;   Parent Loop BB19_6 Depth=1
                                        ; =>  This Loop Header: Depth=2
                                        ;       Child Loop BB19_41 Depth 3
                                        ;         Child Loop BB19_72 Depth 4
	s_and_saveexec_b64 s[38:39], s[8:9]
	s_cbranch_execz .LBB19_37
; %bb.39:                               ;   in Loop: Header=BB19_38 Depth=2
	s_mov_b64 s[40:41], 0
	v_mov_b32_e32 v36, v0
	s_branch .LBB19_41
.LBB19_40:                              ;   in Loop: Header=BB19_41 Depth=3
	s_or_b64 exec, exec, s[42:43]
	v_add_u32_e32 v36, s62, v36
	v_cmp_le_i32_e32 vcc, s73, v36
	s_or_b64 s[40:41], vcc, s[40:41]
	s_waitcnt vmcnt(0)
	s_barrier
	s_andn2_b64 exec, exec, s[40:41]
	s_cbranch_execz .LBB19_37
.LBB19_41:                              ;   Parent Loop BB19_6 Depth=1
                                        ;     Parent Loop BB19_38 Depth=2
                                        ; =>    This Loop Header: Depth=3
                                        ;         Child Loop BB19_72 Depth 4
	v_mov_b32_e32 v6, 0
	v_cmp_ne_u32_e32 vcc, 0, v36
	s_and_saveexec_b64 s[10:11], vcc
	s_cbranch_execz .LBB19_49
; %bb.42:                               ;   in Loop: Header=BB19_41 Depth=3
	v_subrev_u32_e32 v11, s77, v36
	v_lshlrev_b32_e32 v6, 1, v11
	v_cmp_ge_u32_e32 vcc, s77, v36
	s_and_saveexec_b64 s[42:43], vcc
	s_cbranch_execz .LBB19_48
; %bb.43:                               ;   in Loop: Header=BB19_41 Depth=3
	v_add_u32_e32 v12, s75, v36
	v_cmp_le_i32_e32 vcc, s77, v12
	s_and_saveexec_b64 s[44:45], vcc
	s_xor_b64 s[44:45], exec, s[44:45]
; %bb.44:                               ;   in Loop: Header=BB19_41 Depth=3
	v_sub_u32_e32 v6, 1, v6
                                        ; implicit-def: $vgpr11
; %bb.45:                               ;   in Loop: Header=BB19_41 Depth=3
	s_andn2_saveexec_b64 s[44:45], s[44:45]
; %bb.46:                               ;   in Loop: Header=BB19_41 Depth=3
	v_add_lshl_u32 v6, v11, s74, 1
; %bb.47:                               ;   in Loop: Header=BB19_41 Depth=3
	s_or_b64 exec, exec, s[44:45]
.LBB19_48:                              ;   in Loop: Header=BB19_41 Depth=3
	s_or_b64 exec, exec, s[42:43]
.LBB19_49:                              ;   in Loop: Header=BB19_41 Depth=3
	s_or_b64 exec, exec, s[10:11]
	v_sub_u32_e32 v12, s73, v36
	v_add_u32_e32 v11, s77, v36
	v_cmp_ge_i32_e32 vcc, s77, v12
                                        ; implicit-def: $vgpr13
	s_and_saveexec_b64 s[10:11], vcc
	s_xor_b64 s[10:11], exec, s[10:11]
	s_cbranch_execz .LBB19_55
; %bb.50:                               ;   in Loop: Header=BB19_41 Depth=3
	v_sub_u32_e32 v12, s76, v36
	v_cmp_le_i32_e32 vcc, s77, v12
                                        ; implicit-def: $vgpr13
	s_and_saveexec_b64 s[42:43], vcc
	s_xor_b64 s[42:43], exec, s[42:43]
; %bb.51:                               ;   in Loop: Header=BB19_41 Depth=3
	v_sub_u32_e32 v11, s74, v11
	v_lshlrev_b32_e32 v13, 1, v11
                                        ; implicit-def: $vgpr11
; %bb.52:                               ;   in Loop: Header=BB19_41 Depth=3
	s_andn2_saveexec_b64 s[42:43], s[42:43]
; %bb.53:                               ;   in Loop: Header=BB19_41 Depth=3
	v_subrev_u32_e32 v11, s37, v11
	v_lshl_add_u32 v13, v11, 1, 3
; %bb.54:                               ;   in Loop: Header=BB19_41 Depth=3
	s_or_b64 exec, exec, s[42:43]
                                        ; implicit-def: $vgpr11
.LBB19_55:                              ;   in Loop: Header=BB19_41 Depth=3
	s_andn2_saveexec_b64 s[10:11], s[10:11]
; %bb.56:                               ;   in Loop: Header=BB19_41 Depth=3
	v_lshl_or_b32 v13, v11, 1, 1
; %bb.57:                               ;   in Loop: Header=BB19_41 Depth=3
	s_or_b64 exec, exec, s[10:11]
	v_min_i32_e32 v11, v6, v13
	v_add_u32_e32 v11, s36, v11
	v_ashrrev_i32_e32 v12, 31, v11
	v_lshlrev_b64 v[14:15], 2, v[11:12]
	v_mov_b32_e32 v16, s55
	v_add_co_u32_e32 v14, vcc, s54, v14
	v_addc_co_u32_e32 v15, vcc, v16, v15, vcc
	global_load_dword v14, v[14:15], off offset:8
	s_waitcnt vmcnt(0)
	v_cmp_eq_u32_e32 vcc, 1, v14
	s_and_saveexec_b64 s[42:43], vcc
	s_cbranch_execz .LBB19_40
; %bb.58:                               ;   in Loop: Header=BB19_41 Depth=3
	v_max_i32_e32 v6, v6, v13
	v_add_u32_e32 v13, s36, v6
	v_ashrrev_i32_e32 v14, 31, v13
	v_lshlrev_b64 v[15:16], 2, v[13:14]
	v_mov_b32_e32 v17, s55
	v_add_co_u32_e32 v26, vcc, s54, v15
	v_addc_co_u32_e32 v27, vcc, v17, v16, vcc
	global_load_dword v15, v[26:27], off offset:8
	v_cmp_gt_i32_e64 s[10:11], s25, v6
	s_waitcnt vmcnt(0)
	v_cmp_eq_u32_e32 vcc, 1, v15
	s_and_b64 s[10:11], vcc, s[10:11]
	s_and_b64 exec, exec, s[10:11]
	s_cbranch_execz .LBB19_40
; %bb.59:                               ;   in Loop: Header=BB19_41 Depth=3
	v_lshlrev_b64 v[16:17], 3, v[11:12]
	v_mov_b32_e32 v6, s49
	v_add_co_u32_e32 v18, vcc, s48, v16
	v_lshlrev_b64 v[14:15], 3, v[13:14]
	v_addc_co_u32_e32 v19, vcc, v6, v17, vcc
	v_add_co_u32_e32 v20, vcc, s48, v14
	v_addc_co_u32_e32 v21, vcc, v6, v15, vcc
	global_load_dwordx2 v[18:19], v[18:19], off
	s_nop 0
	global_load_dwordx2 v[20:21], v[20:21], off
	s_waitcnt vmcnt(0)
	v_add_f64 v[18:19], v[18:19], -v[20:21]
	v_cmp_le_f64_e64 s[10:11], |v[18:19]|, v[9:10]
	s_and_b64 exec, exec, s[10:11]
	s_cbranch_execz .LBB19_40
; %bb.60:                               ;   in Loop: Header=BB19_41 Depth=3
	v_mov_b32_e32 v6, s59
	v_add_co_u32_e32 v14, vcc, s58, v14
	v_addc_co_u32_e32 v15, vcc, v6, v15, vcc
	global_load_dwordx2 v[20:21], v[14:15], off
	v_add_co_u32_e32 v16, vcc, s58, v16
	v_addc_co_u32_e32 v17, vcc, v6, v17, vcc
	global_load_dwordx2 v[18:19], v[16:17], off
	v_mov_b32_e32 v22, 0
	v_mov_b32_e32 v24, 0
	;; [unrolled: 1-line block ×4, first 2 shown]
	global_store_dword v[26:27], v5, off offset:8
	s_waitcnt vmcnt(2)
	v_cmp_neq_f64_e32 vcc, 0, v[20:21]
	s_and_saveexec_b64 s[10:11], vcc
	s_cbranch_execz .LBB19_70
; %bb.61:                               ;   in Loop: Header=BB19_41 Depth=3
	s_waitcnt vmcnt(1)
	v_cmp_neq_f64_e32 vcc, 0, v[18:19]
	v_xor_b32_e32 v27, 0x80000000, v21
	v_mov_b32_e32 v26, v20
                                        ; implicit-def: $vgpr22_vgpr23
                                        ; implicit-def: $vgpr24_vgpr25
	s_and_saveexec_b64 s[44:45], vcc
	s_xor_b64 s[44:45], exec, s[44:45]
	s_cbranch_execz .LBB19_67
; %bb.62:                               ;   in Loop: Header=BB19_41 Depth=3
	v_cmp_ngt_f64_e64 s[46:47], |v[20:21]|, |v[18:19]|
                                        ; implicit-def: $vgpr22_vgpr23
                                        ; implicit-def: $vgpr24_vgpr25
	s_and_saveexec_b64 s[78:79], s[46:47]
	s_xor_b64 s[46:47], exec, s[78:79]
	s_cbranch_execz .LBB19_64
; %bb.63:                               ;   in Loop: Header=BB19_41 Depth=3
	v_div_scale_f64 v[22:23], s[78:79], v[18:19], v[18:19], -v[20:21]
	v_rcp_f64_e32 v[24:25], v[22:23]
	v_fma_f64 v[26:27], -v[22:23], v[24:25], 1.0
	v_fma_f64 v[24:25], v[24:25], v[26:27], v[24:25]
	v_div_scale_f64 v[26:27], vcc, -v[20:21], v[18:19], -v[20:21]
	v_fma_f64 v[37:38], -v[22:23], v[24:25], 1.0
	v_fma_f64 v[24:25], v[24:25], v[37:38], v[24:25]
	v_mul_f64 v[37:38], v[26:27], v[24:25]
	v_fma_f64 v[22:23], -v[22:23], v[37:38], v[26:27]
	v_div_fmas_f64 v[22:23], v[22:23], v[24:25], v[37:38]
	v_div_fixup_f64 v[22:23], v[22:23], v[18:19], -v[20:21]
	v_fma_f64 v[24:25], v[22:23], v[22:23], 1.0
	v_cmp_gt_f64_e32 vcc, s[34:35], v[24:25]
	v_cndmask_b32_e32 v6, 0, v34, vcc
	v_ldexp_f64 v[24:25], v[24:25], v6
	v_cndmask_b32_e32 v6, 0, v35, vcc
	v_rsq_f64_e32 v[26:27], v[24:25]
	v_cmp_class_f64_e32 vcc, v[24:25], v33
	v_mul_f64 v[37:38], v[24:25], v[26:27]
	v_mul_f64 v[26:27], v[26:27], 0.5
	v_fma_f64 v[39:40], -v[26:27], v[37:38], 0.5
	v_fma_f64 v[37:38], v[37:38], v[39:40], v[37:38]
	v_fma_f64 v[26:27], v[26:27], v[39:40], v[26:27]
	v_fma_f64 v[39:40], -v[37:38], v[37:38], v[24:25]
	v_fma_f64 v[37:38], v[39:40], v[26:27], v[37:38]
	v_fma_f64 v[39:40], -v[37:38], v[37:38], v[24:25]
	v_fma_f64 v[26:27], v[39:40], v[26:27], v[37:38]
	v_ldexp_f64 v[26:27], v[26:27], v6
	v_cndmask_b32_e32 v25, v27, v25, vcc
	v_cndmask_b32_e32 v24, v26, v24, vcc
	v_div_scale_f64 v[26:27], s[78:79], v[24:25], v[24:25], 1.0
	v_div_scale_f64 v[41:42], vcc, 1.0, v[24:25], 1.0
	v_rcp_f64_e32 v[37:38], v[26:27]
	v_fma_f64 v[39:40], -v[26:27], v[37:38], 1.0
	v_fma_f64 v[37:38], v[37:38], v[39:40], v[37:38]
	v_fma_f64 v[39:40], -v[26:27], v[37:38], 1.0
	v_fma_f64 v[37:38], v[37:38], v[39:40], v[37:38]
	v_mul_f64 v[39:40], v[41:42], v[37:38]
	v_fma_f64 v[26:27], -v[26:27], v[39:40], v[41:42]
	v_div_fmas_f64 v[26:27], v[26:27], v[37:38], v[39:40]
	v_div_fixup_f64 v[24:25], v[26:27], v[24:25], 1.0
	v_mul_f64 v[22:23], v[22:23], v[24:25]
.LBB19_64:                              ;   in Loop: Header=BB19_41 Depth=3
	s_andn2_saveexec_b64 s[46:47], s[46:47]
	s_cbranch_execz .LBB19_66
; %bb.65:                               ;   in Loop: Header=BB19_41 Depth=3
	v_div_scale_f64 v[22:23], s[78:79], v[20:21], v[20:21], -v[18:19]
	v_rcp_f64_e32 v[24:25], v[22:23]
	v_fma_f64 v[26:27], -v[22:23], v[24:25], 1.0
	v_fma_f64 v[24:25], v[24:25], v[26:27], v[24:25]
	v_div_scale_f64 v[26:27], vcc, -v[18:19], v[20:21], -v[18:19]
	v_fma_f64 v[37:38], -v[22:23], v[24:25], 1.0
	v_fma_f64 v[24:25], v[24:25], v[37:38], v[24:25]
	v_mul_f64 v[37:38], v[26:27], v[24:25]
	v_fma_f64 v[22:23], -v[22:23], v[37:38], v[26:27]
	v_div_fmas_f64 v[22:23], v[22:23], v[24:25], v[37:38]
	v_div_fixup_f64 v[24:25], v[22:23], v[20:21], -v[18:19]
	v_fma_f64 v[22:23], v[24:25], v[24:25], 1.0
	v_cmp_gt_f64_e32 vcc, s[34:35], v[22:23]
	v_cndmask_b32_e32 v6, 0, v34, vcc
	v_ldexp_f64 v[22:23], v[22:23], v6
	v_cndmask_b32_e32 v6, 0, v35, vcc
	v_rsq_f64_e32 v[26:27], v[22:23]
	v_cmp_class_f64_e32 vcc, v[22:23], v33
	v_mul_f64 v[37:38], v[22:23], v[26:27]
	v_mul_f64 v[26:27], v[26:27], 0.5
	v_fma_f64 v[39:40], -v[26:27], v[37:38], 0.5
	v_fma_f64 v[37:38], v[37:38], v[39:40], v[37:38]
	v_fma_f64 v[26:27], v[26:27], v[39:40], v[26:27]
	v_fma_f64 v[39:40], -v[37:38], v[37:38], v[22:23]
	v_fma_f64 v[37:38], v[39:40], v[26:27], v[37:38]
	v_fma_f64 v[39:40], -v[37:38], v[37:38], v[22:23]
	v_fma_f64 v[26:27], v[39:40], v[26:27], v[37:38]
	v_ldexp_f64 v[26:27], v[26:27], v6
	v_cndmask_b32_e32 v23, v27, v23, vcc
	v_cndmask_b32_e32 v22, v26, v22, vcc
	v_div_scale_f64 v[26:27], s[78:79], v[22:23], v[22:23], 1.0
	v_div_scale_f64 v[41:42], vcc, 1.0, v[22:23], 1.0
	v_rcp_f64_e32 v[37:38], v[26:27]
	v_fma_f64 v[39:40], -v[26:27], v[37:38], 1.0
	v_fma_f64 v[37:38], v[37:38], v[39:40], v[37:38]
	v_fma_f64 v[39:40], -v[26:27], v[37:38], 1.0
	v_fma_f64 v[37:38], v[37:38], v[39:40], v[37:38]
	v_mul_f64 v[39:40], v[41:42], v[37:38]
	v_fma_f64 v[26:27], -v[26:27], v[39:40], v[41:42]
	v_div_fmas_f64 v[26:27], v[26:27], v[37:38], v[39:40]
	v_div_fixup_f64 v[22:23], v[26:27], v[22:23], 1.0
	v_mul_f64 v[24:25], v[24:25], v[22:23]
.LBB19_66:                              ;   in Loop: Header=BB19_41 Depth=3
	s_or_b64 exec, exec, s[46:47]
	v_mul_f64 v[20:21], v[20:21], v[22:23]
	v_fma_f64 v[26:27], v[18:19], v[24:25], -v[20:21]
.LBB19_67:                              ;   in Loop: Header=BB19_41 Depth=3
	s_andn2_saveexec_b64 s[44:45], s[44:45]
; %bb.68:                               ;   in Loop: Header=BB19_41 Depth=3
	v_mov_b32_e32 v24, 0
	v_mov_b32_e32 v22, 0
	v_mov_b32_e32 v25, 0
	v_mov_b32_e32 v23, 0x3ff00000
; %bb.69:                               ;   in Loop: Header=BB19_41 Depth=3
	s_or_b64 exec, exec, s[44:45]
	v_mov_b32_e32 v18, v26
	v_mov_b32_e32 v19, v27
.LBB19_70:                              ;   in Loop: Header=BB19_41 Depth=3
	s_or_b64 exec, exec, s[10:11]
	v_mov_b32_e32 v6, v5
	s_andn2_b64 vcc, exec, s[28:29]
	s_waitcnt vmcnt(1)
	global_store_dwordx2 v[16:17], v[18:19], off
	global_store_dwordx2 v[14:15], v[5:6], off
	s_cbranch_vccnz .LBB19_40
; %bb.71:                               ;   in Loop: Header=BB19_41 Depth=3
	v_mul_lo_u32 v12, v13, s23
	v_mul_lo_u32 v14, v11, s23
	v_mov_b32_e32 v6, s13
	s_mov_b32 s10, s21
	v_ashrrev_i32_e32 v13, 31, v12
	v_lshlrev_b64 v[11:12], 3, v[12:13]
	v_ashrrev_i32_e32 v15, 31, v14
	v_add_co_u32_e32 v11, vcc, s12, v11
	v_lshlrev_b64 v[13:14], 3, v[14:15]
	v_addc_co_u32_e32 v12, vcc, v6, v12, vcc
	v_add_co_u32_e32 v13, vcc, s12, v13
	v_addc_co_u32_e32 v14, vcc, v6, v14, vcc
.LBB19_72:                              ;   Parent Loop BB19_6 Depth=1
                                        ;     Parent Loop BB19_38 Depth=2
                                        ;       Parent Loop BB19_41 Depth=3
                                        ; =>      This Inner Loop Header: Depth=4
	global_load_dwordx2 v[15:16], v[11:12], off
	global_load_dwordx2 v[17:18], v[13:14], off
	s_add_i32 s10, s10, -1
	s_cmp_lg_u32 s10, 0
	s_waitcnt vmcnt(1)
	v_mul_f64 v[19:20], v[22:23], v[15:16]
	v_mul_f64 v[15:16], v[24:25], v[15:16]
	s_waitcnt vmcnt(0)
	v_fma_f64 v[19:20], v[24:25], v[17:18], -v[19:20]
	v_fma_f64 v[15:16], v[22:23], v[17:18], v[15:16]
	global_store_dwordx2 v[13:14], v[19:20], off
	global_store_dwordx2 v[11:12], v[15:16], off
	v_add_co_u32_e32 v11, vcc, 8, v11
	v_addc_co_u32_e32 v12, vcc, 0, v12, vcc
	v_add_co_u32_e32 v13, vcc, 8, v13
	v_addc_co_u32_e32 v14, vcc, 0, v14, vcc
	s_cbranch_scc1 .LBB19_72
	s_branch .LBB19_40
.LBB19_73:                              ;   in Loop: Header=BB19_6 Depth=1
	s_cmp_lt_i32 s25, 1
	s_cbranch_scc1 .LBB19_5
; %bb.74:                               ;   in Loop: Header=BB19_6 Depth=1
	s_mul_i32 s8, s36, s21
	s_ashr_i32 s9, s8, 31
	s_lshl_b64 s[8:9], s[8:9], 3
	s_add_u32 s73, s60, s8
	s_addc_u32 s74, s61, s9
	s_ashr_i32 s37, s36, 31
	s_lshl_b64 s[8:9], s[36:37], 3
	s_add_u32 s10, s48, s8
	s_addc_u32 s11, s49, s9
	s_add_u32 s38, s58, s8
	s_addc_u32 s39, s59, s9
	v_cmp_gt_f64_e64 s[8:9], 0, v[7:8]
	s_lshl_b64 s[36:37], s[36:37], 2
	s_add_u32 s75, s56, s36
	s_addc_u32 s76, s57, s37
	s_add_u32 s36, s71, s36
	s_addc_u32 s37, s72, s37
	s_mov_b32 s77, 0
	s_mov_b64 s[40:41], s[38:39]
	s_mov_b32 s42, 0
	s_branch .LBB19_77
.LBB19_75:                              ;   in Loop: Header=BB19_77 Depth=2
	s_or_b64 exec, exec, s[44:45]
	s_add_i32 s42, s42, 1
.LBB19_76:                              ;   in Loop: Header=BB19_77 Depth=2
	s_add_i32 s77, s77, 1
	s_add_u32 s36, s36, 4
	s_addc_u32 s37, s37, 0
	s_add_u32 s10, s10, 8
	s_addc_u32 s11, s11, 0
	;; [unrolled: 2-line block ×3, first 2 shown]
	s_cmp_lg_u32 s25, s77
	s_cbranch_scc0 .LBB19_5
.LBB19_77:                              ;   Parent Loop BB19_6 Depth=1
                                        ; =>  This Inner Loop Header: Depth=2
	global_load_dword v6, v5, s[36:37]
	s_waitcnt vmcnt(0)
	v_cmp_ne_u32_e32 vcc, 1, v6
	s_cbranch_vccnz .LBB19_76
; %bb.78:                               ;   in Loop: Header=BB19_77 Depth=2
	s_and_saveexec_b64 s[44:45], s[4:5]
	s_cbranch_execz .LBB19_75
; %bb.79:                               ;   in Loop: Header=BB19_77 Depth=2
	global_load_dwordx2 v[6:7], v5, s[10:11]
	s_ashr_i32 s43, s42, 31
	s_lshl_b64 s[46:47], s[42:43], 2
	s_add_u32 s78, s75, s46
	v_mov_b32_e32 v8, s77
	s_addc_u32 s79, s76, s47
	s_lshl_b64 s[46:47], s[42:43], 3
	global_store_dword v5, v8, s[78:79] offset:8
	s_add_u32 s78, s73, s46
	s_addc_u32 s79, s74, s47
	s_cmp_eq_u32 s77, s42
	s_waitcnt vmcnt(1)
	v_xor_b32_e32 v8, 0x80000000, v7
	v_cndmask_b32_e64 v7, v7, v8, s[8:9]
	global_store_dwordx2 v5, v[6:7], s[78:79]
	s_cbranch_scc1 .LBB19_75
; %bb.80:                               ;   in Loop: Header=BB19_77 Depth=2
	global_load_dwordx2 v[6:7], v5, s[40:41]
	s_add_u32 s46, s38, s46
	s_addc_u32 s47, s39, s47
	s_waitcnt vmcnt(0)
	global_store_dwordx2 v5, v[6:7], s[46:47]
	s_branch .LBB19_75
.LBB19_81:
	s_endpgm
.LBB19_82:
                                        ; implicit-def: $sgpr12_sgpr13
                                        ; implicit-def: $sgpr2
	s_branch .LBB19_2
	.section	.rodata,"a",@progbits
	.p2align	6, 0x0
	.amdhsa_kernel _ZN9rocsolver6v33100L26stedcj_mergePrepare_kernelIdEEviiPT_lS3_lS3_iilS3_S3_PiS2_
		.amdhsa_group_segment_fixed_size 0
		.amdhsa_private_segment_fixed_size 0
		.amdhsa_kernarg_size 352
		.amdhsa_user_sgpr_count 6
		.amdhsa_user_sgpr_private_segment_buffer 1
		.amdhsa_user_sgpr_dispatch_ptr 0
		.amdhsa_user_sgpr_queue_ptr 0
		.amdhsa_user_sgpr_kernarg_segment_ptr 1
		.amdhsa_user_sgpr_dispatch_id 0
		.amdhsa_user_sgpr_flat_scratch_init 0
		.amdhsa_user_sgpr_private_segment_size 0
		.amdhsa_uses_dynamic_stack 0
		.amdhsa_system_sgpr_private_segment_wavefront_offset 0
		.amdhsa_system_sgpr_workgroup_id_x 1
		.amdhsa_system_sgpr_workgroup_id_y 1
		.amdhsa_system_sgpr_workgroup_id_z 1
		.amdhsa_system_sgpr_workgroup_info 0
		.amdhsa_system_vgpr_workitem_id 0
		.amdhsa_next_free_vgpr 43
		.amdhsa_next_free_sgpr 80
		.amdhsa_reserve_vcc 1
		.amdhsa_reserve_flat_scratch 0
		.amdhsa_float_round_mode_32 0
		.amdhsa_float_round_mode_16_64 0
		.amdhsa_float_denorm_mode_32 3
		.amdhsa_float_denorm_mode_16_64 3
		.amdhsa_dx10_clamp 1
		.amdhsa_ieee_mode 1
		.amdhsa_fp16_overflow 0
		.amdhsa_exception_fp_ieee_invalid_op 0
		.amdhsa_exception_fp_denorm_src 0
		.amdhsa_exception_fp_ieee_div_zero 0
		.amdhsa_exception_fp_ieee_overflow 0
		.amdhsa_exception_fp_ieee_underflow 0
		.amdhsa_exception_fp_ieee_inexact 0
		.amdhsa_exception_int_div_zero 0
	.end_amdhsa_kernel
	.section	.text._ZN9rocsolver6v33100L26stedcj_mergePrepare_kernelIdEEviiPT_lS3_lS3_iilS3_S3_PiS2_,"axG",@progbits,_ZN9rocsolver6v33100L26stedcj_mergePrepare_kernelIdEEviiPT_lS3_lS3_iilS3_S3_PiS2_,comdat
.Lfunc_end19:
	.size	_ZN9rocsolver6v33100L26stedcj_mergePrepare_kernelIdEEviiPT_lS3_lS3_iilS3_S3_PiS2_, .Lfunc_end19-_ZN9rocsolver6v33100L26stedcj_mergePrepare_kernelIdEEviiPT_lS3_lS3_iilS3_S3_PiS2_
                                        ; -- End function
	.set _ZN9rocsolver6v33100L26stedcj_mergePrepare_kernelIdEEviiPT_lS3_lS3_iilS3_S3_PiS2_.num_vgpr, 43
	.set _ZN9rocsolver6v33100L26stedcj_mergePrepare_kernelIdEEviiPT_lS3_lS3_iilS3_S3_PiS2_.num_agpr, 0
	.set _ZN9rocsolver6v33100L26stedcj_mergePrepare_kernelIdEEviiPT_lS3_lS3_iilS3_S3_PiS2_.numbered_sgpr, 80
	.set _ZN9rocsolver6v33100L26stedcj_mergePrepare_kernelIdEEviiPT_lS3_lS3_iilS3_S3_PiS2_.num_named_barrier, 0
	.set _ZN9rocsolver6v33100L26stedcj_mergePrepare_kernelIdEEviiPT_lS3_lS3_iilS3_S3_PiS2_.private_seg_size, 0
	.set _ZN9rocsolver6v33100L26stedcj_mergePrepare_kernelIdEEviiPT_lS3_lS3_iilS3_S3_PiS2_.uses_vcc, 1
	.set _ZN9rocsolver6v33100L26stedcj_mergePrepare_kernelIdEEviiPT_lS3_lS3_iilS3_S3_PiS2_.uses_flat_scratch, 0
	.set _ZN9rocsolver6v33100L26stedcj_mergePrepare_kernelIdEEviiPT_lS3_lS3_iilS3_S3_PiS2_.has_dyn_sized_stack, 0
	.set _ZN9rocsolver6v33100L26stedcj_mergePrepare_kernelIdEEviiPT_lS3_lS3_iilS3_S3_PiS2_.has_recursion, 0
	.set _ZN9rocsolver6v33100L26stedcj_mergePrepare_kernelIdEEviiPT_lS3_lS3_iilS3_S3_PiS2_.has_indirect_call, 0
	.section	.AMDGPU.csdata,"",@progbits
; Kernel info:
; codeLenInByte = 3924
; TotalNumSgprs: 84
; NumVgprs: 43
; ScratchSize: 0
; MemoryBound: 0
; FloatMode: 240
; IeeeMode: 1
; LDSByteSize: 0 bytes/workgroup (compile time only)
; SGPRBlocks: 10
; VGPRBlocks: 10
; NumSGPRsForWavesPerEU: 84
; NumVGPRsForWavesPerEU: 43
; Occupancy: 5
; WaveLimiterHint : 1
; COMPUTE_PGM_RSRC2:SCRATCH_EN: 0
; COMPUTE_PGM_RSRC2:USER_SGPR: 6
; COMPUTE_PGM_RSRC2:TRAP_HANDLER: 0
; COMPUTE_PGM_RSRC2:TGID_X_EN: 1
; COMPUTE_PGM_RSRC2:TGID_Y_EN: 1
; COMPUTE_PGM_RSRC2:TGID_Z_EN: 1
; COMPUTE_PGM_RSRC2:TIDIG_COMP_CNT: 0
	.section	.text._ZN9rocsolver6v33100L25stedcj_mergeValues_kernelIdEEviiPT_lS3_lS3_S3_PiS2_S2_S2_,"axG",@progbits,_ZN9rocsolver6v33100L25stedcj_mergeValues_kernelIdEEviiPT_lS3_lS3_S3_PiS2_S2_S2_,comdat
	.globl	_ZN9rocsolver6v33100L25stedcj_mergeValues_kernelIdEEviiPT_lS3_lS3_S3_PiS2_S2_S2_ ; -- Begin function _ZN9rocsolver6v33100L25stedcj_mergeValues_kernelIdEEviiPT_lS3_lS3_S3_PiS2_S2_S2_
	.p2align	8
	.type	_ZN9rocsolver6v33100L25stedcj_mergeValues_kernelIdEEviiPT_lS3_lS3_S3_PiS2_S2_S2_,@function
_ZN9rocsolver6v33100L25stedcj_mergeValues_kernelIdEEviiPT_lS3_lS3_S3_PiS2_S2_S2_: ; @_ZN9rocsolver6v33100L25stedcj_mergeValues_kernelIdEEviiPT_lS3_lS3_S3_PiS2_S2_S2_
; %bb.0:
	s_load_dwordx2 s[36:37], s[4:5], 0x0
	s_load_dwordx16 s[12:27], s[4:5], 0x8
	s_mov_b32 s30, s6
	s_mov_b32 s28, s7
                                        ; implicit-def: $vgpr82 : SGPR spill to VGPR lane
	s_waitcnt lgkmcnt(0)
	s_mul_i32 s0, s37, 5
	s_add_i32 s0, s0, 2
	s_mul_i32 s0, s0, s8
	s_ashr_i32 s1, s0, 31
	s_lshl_b64 s[0:1], s[0:1], 2
	s_add_u32 s33, s24, s0
	s_addc_u32 s40, s25, s1
	s_ashr_i32 s35, s37, 31
	s_mov_b32 s34, s37
	s_lshl_b64 s[2:3], s[34:35], 2
	s_add_u32 s6, s33, s2
	s_addc_u32 s7, s40, s3
	v_writelane_b32 v82, s6, 0
	s_load_dword s44, s[6:7], 0x4
	v_writelane_b32 v82, s7, 1
	s_waitcnt lgkmcnt(0)
	s_cmp_ge_i32 s28, s44
	s_cbranch_scc1 .LBB20_250
; %bb.1:
	s_ashr_i32 s9, s8, 31
	s_mul_hi_u32 s6, s14, s8
	s_mul_i32 s7, s14, s9
	s_add_i32 s6, s6, s7
	s_mul_i32 s7, s15, s8
	s_add_i32 s7, s6, s7
	s_mul_i32 s6, s14, s8
	s_lshl_b64 s[6:7], s[6:7], 3
	s_add_u32 s45, s12, s6
	s_addc_u32 s38, s13, s7
	s_mul_hi_u32 s6, s18, s8
	s_mul_i32 s7, s18, s9
	s_add_i32 s6, s6, s7
	s_mul_i32 s7, s19, s8
	s_add_i32 s7, s6, s7
	s_mul_i32 s6, s18, s8
	s_lshl_b64 s[6:7], s[6:7], 3
	s_add_u32 s6, s16, s6
	v_writelane_b32 v82, s6, 2
	s_addc_u32 s6, s17, s7
	v_writelane_b32 v82, s6, 3
	v_readlane_b32 s6, v82, 0
	v_readlane_b32 s7, v82, 1
	s_add_u32 s6, s6, s2
	s_addc_u32 s7, s7, s3
	v_writelane_b32 v82, s6, 4
	s_add_u32 s6, s6, s2
	v_writelane_b32 v82, s7, 5
	s_addc_u32 s7, s7, s3
	v_writelane_b32 v82, s6, 6
	s_add_u32 s6, s6, s2
	v_writelane_b32 v82, s6, 7
	v_writelane_b32 v82, s7, 8
	s_addc_u32 s6, s7, s3
	s_lshl_b32 s8, s8, 1
	v_writelane_b32 v82, s6, 9
	s_mul_i32 s6, s8, s37
	s_ashr_i32 s7, s6, 31
	s_lshl_b64 s[6:7], s[6:7], 3
	s_add_u32 s12, s20, s6
	s_addc_u32 s13, s21, s7
	s_lshl_b64 s[18:19], s[34:35], 3
	s_mul_i32 s20, s37, s37
	s_add_u32 s41, s12, s18
	s_mul_i32 s6, s8, s20
	s_addc_u32 s39, s13, s19
	s_ashr_i32 s7, s6, 31
	s_lshl_b64 s[6:7], s[6:7], 3
	s_add_u32 s10, s22, s6
	s_mov_b32 s21, 0
	s_addc_u32 s11, s23, s7
	s_lshl_b64 s[8:9], s[20:21], 3
	s_add_u32 s10, s10, s8
	v_writelane_b32 v82, s10, 10
	s_addc_u32 s10, s11, s9
	v_writelane_b32 v82, s10, 11
	s_not_b32 s14, s36
	s_lshl_b32 s10, 1, s36
	s_lshl_b32 s11, 2, s36
	s_add_u32 s4, s4, 0x58
	s_addc_u32 s5, s5, 0
	v_writelane_b32 v82, s4, 12
	s_mul_i32 s16, s11, s30
	s_cmp_gt_i32 s10, 1
	v_writelane_b32 v82, s5, 13
	s_cselect_b64 s[4:5], -1, 0
	s_ashr_i32 s17, s16, 31
	v_writelane_b32 v82, s4, 14
	s_cmp_gt_i32 s11, 1
	v_writelane_b32 v82, s5, 15
	s_cselect_b64 s[4:5], -1, 0
	s_add_u32 s2, s2, s0
	v_writelane_b32 v82, s4, 16
	s_addc_u32 s3, s3, s1
	v_writelane_b32 v82, s5, 17
	s_add_u32 s4, s24, s2
	s_addc_u32 s5, s25, s3
	s_add_u32 s4, s4, 12
	v_writelane_b32 v82, s4, 18
	s_addc_u32 s4, s5, 0
	s_lshl_b64 s[46:47], s[16:17], 2
	s_add_u32 s2, s2, s46
	s_addc_u32 s3, s3, s47
	v_writelane_b32 v82, s4, 19
	s_mov_b32 s4, s16
	s_add_u32 s2, s24, s2
	v_writelane_b32 v82, s4, 20
	s_addc_u32 s3, s25, s3
	v_writelane_b32 v82, s5, 21
	s_add_u32 s2, s2, 12
	v_writelane_b32 v82, s2, 22
	s_addc_u32 s2, s3, 0
	v_writelane_b32 v82, s2, 23
	s_add_i32 s2, s11, -1
	v_writelane_b32 v82, s2, 24
	s_mul_i32 s2, s34, 12
	s_add_u32 s2, s2, s0
	s_mul_hi_i32 s3, s34, 12
	s_addc_u32 s3, s3, s1
	s_add_u32 s2, s24, s2
	s_addc_u32 s3, s25, s3
	s_add_u32 s2, s2, 8
	v_writelane_b32 v82, s2, 25
	s_addc_u32 s2, s3, 0
	v_writelane_b32 v82, s2, 26
	s_lshl_b64 s[2:3], s[34:35], 4
	s_add_u32 s0, s2, s0
	s_addc_u32 s1, s3, s1
	s_add_u32 s0, s24, s0
	s_addc_u32 s1, s25, s1
	s_add_u32 s0, s0, 8
	v_writelane_b32 v82, s0, 27
	s_addc_u32 s0, s1, 0
	v_writelane_b32 v82, s0, 28
	v_writelane_b32 v82, s12, 29
	s_add_u32 s0, s12, 8
	v_writelane_b32 v82, s0, 30
	v_writelane_b32 v82, s13, 31
	s_addc_u32 s0, s13, 0
	v_writelane_b32 v82, s0, 32
	s_add_u32 s0, s6, s8
	s_addc_u32 s1, s7, s9
	s_add_u32 s0, s22, s0
	v_writelane_b32 v82, s0, 33
	s_addc_u32 s0, s23, s1
	v_writelane_b32 v82, s0, 34
	v_writelane_b32 v82, s30, 35
	;; [unrolled: 1-line block ×3, first 2 shown]
	v_cvt_f32_u32_e32 v63, v0
	v_mul_lo_u32 v66, v0, s34
	v_writelane_b32 v82, s37, 37
	v_writelane_b32 v82, s33, 38
	s_mov_b32 s22, 0
	s_mov_b32 s24, 0
	;; [unrolled: 1-line block ×4, first 2 shown]
	v_writelane_b32 v82, s40, 39
	v_lshlrev_b32_e32 v62, 1, v0
	v_add_u32_e32 v64, s34, v0
	v_lshlrev_b32_e32 v65, 3, v0
	v_mov_b32_e32 v10, 0
	v_mov_b32_e32 v67, 0x260
	;; [unrolled: 1-line block ×3, first 2 shown]
	s_brev_b32 s23, 8
	s_mov_b32 s25, 0x40200000
	s_mov_b32 s49, 0x40080000
	;; [unrolled: 1-line block ×3, first 2 shown]
	v_mov_b32_e32 v69, 0xffffff80
	v_writelane_b32 v82, s44, 40
	v_writelane_b32 v82, s14, 41
	s_branch .LBB20_4
.LBB20_2:                               ;   in Loop: Header=BB20_4 Depth=1
	s_or_b64 exec, exec, s[2:3]
	v_readlane_b32 s36, v82, 36
	v_readlane_b32 s14, v82, 41
	;; [unrolled: 1-line block ×3, first 2 shown]
.LBB20_3:                               ;   in Loop: Header=BB20_4 Depth=1
	s_add_i32 s28, s28, 8
	s_cmp_ge_i32 s28, s44
	s_cbranch_scc1 .LBB20_250
.LBB20_4:                               ; =>This Loop Header: Depth=1
                                        ;     Child Loop BB20_12 Depth 2
                                        ;     Child Loop BB20_19 Depth 2
	;; [unrolled: 1-line block ×4, first 2 shown]
                                        ;       Child Loop BB20_29 Depth 3
                                        ;     Child Loop BB20_34 Depth 2
                                        ;       Child Loop BB20_36 Depth 3
                                        ;     Child Loop BB20_40 Depth 2
                                        ;     Child Loop BB20_44 Depth 2
                                        ;       Child Loop BB20_49 Depth 3
                                        ;       Child Loop BB20_56 Depth 3
	;; [unrolled: 1-line block ×10, first 2 shown]
                                        ;         Child Loop BB20_162 Depth 4
                                        ;         Child Loop BB20_166 Depth 4
                                        ;       Child Loop BB20_172 Depth 3
                                        ;       Child Loop BB20_188 Depth 3
	;; [unrolled: 1-line block ×5, first 2 shown]
                                        ;         Child Loop BB20_232 Depth 4
                                        ;     Child Loop BB20_242 Depth 2
                                        ;       Child Loop BB20_246 Depth 3
	s_ashr_i32 s29, s28, 31
	s_lshl_b64 s[0:1], s[28:29], 2
	s_add_u32 s0, s33, s0
	s_addc_u32 s1, s40, s1
	s_waitcnt vmcnt(0)
	s_barrier
	global_load_dwordx2 v[1:2], v10, s[0:1]
	s_mov_b32 s2, s21
	s_waitcnt vmcnt(0)
	v_readfirstlane_b32 s0, v1
	v_readfirstlane_b32 s1, v2
	s_sub_i32 s1, s1, s0
	s_cmp_lt_i32 s1, 3
	s_cbranch_scc1 .LBB20_9
; %bb.5:                                ;   in Loop: Header=BB20_4 Depth=1
	s_cmp_lt_u32 s1, 5
	s_mov_b32 s2, 1
	s_cbranch_scc1 .LBB20_9
; %bb.6:                                ;   in Loop: Header=BB20_4 Depth=1
	s_cmp_lt_u32 s1, 33
	s_mov_b32 s2, 2
	s_cbranch_scc1 .LBB20_9
; %bb.7:                                ;   in Loop: Header=BB20_4 Depth=1
	s_cmpk_lt_u32 s1, 0xe9
	s_mov_b32 s2, 4
	s_cbranch_scc1 .LBB20_9
; %bb.8:                                ;   in Loop: Header=BB20_4 Depth=1
	s_cmpk_lt_u32 s1, 0x128
	s_cselect_b32 s2, 5, 7
	s_cmpk_lt_u32 s1, 0x79b
	s_cselect_b32 s2, s2, 8
.LBB20_9:                               ;   in Loop: Header=BB20_4 Depth=1
	s_add_i32 s1, s2, s14
	s_lshl_b32 s2, 1, s1
	s_cmp_gt_i32 s1, -1
	s_cselect_b32 s1, s2, 0
	s_cmp_ge_i32 s30, s1
	s_cbranch_scc1 .LBB20_3
; %bb.10:                               ;   in Loop: Header=BB20_4 Depth=1
	v_readlane_b32 s2, v82, 12
	v_readlane_b32 s3, v82, 13
	s_ashr_i32 s1, s0, 31
	s_load_dword s2, s[2:3], 0xc
	s_lshl_b64 s[0:1], s[0:1], 2
	v_readlane_b32 s4, v82, 0
	v_readlane_b32 s5, v82, 1
	s_add_u32 s6, s4, s0
	s_addc_u32 s7, s5, s1
	v_readlane_b32 s3, v82, 4
	s_add_u32 s4, s3, s0
	v_readlane_b32 s3, v82, 5
	s_addc_u32 s5, s3, s1
	s_waitcnt lgkmcnt(0)
	s_bfe_u32 s3, s2, 0xf0001
	v_cvt_f32_u32_e32 v1, s3
	v_readlane_b32 s8, v82, 20
	v_mov_b32_e32 v5, s5
	v_mov_b32_e32 v7, s7
	v_rcp_iflag_f32_e32 v2, v1
	v_readlane_b32 s9, v82, 21
	v_mul_f32_e32 v2, v63, v2
	v_trunc_f32_e32 v2, v2
	v_cvt_u32_f32_e32 v3, v2
	v_mad_f32 v2, -v2, v1, v63
	v_cmp_ge_f32_e64 vcc, |v2|, v1
	v_addc_co_u32_e32 v1, vcc, 0, v3, vcc
	v_and_b32_e32 v1, 0x7fff, v1
	v_lshlrev_b32_e32 v1, s36, v1
	v_add_u32_e32 v1, s8, v1
	v_ashrrev_i32_e32 v2, 31, v1
	v_lshlrev_b64 v[2:3], 2, v[1:2]
	v_readlane_b32 s8, v82, 14
	v_add_co_u32_e32 v4, vcc, s4, v2
	v_addc_co_u32_e32 v5, vcc, v5, v3, vcc
	v_add_co_u32_e32 v6, vcc, s6, v2
	v_addc_co_u32_e32 v7, vcc, v7, v3, vcc
	global_load_dword v1, v[4:5], off offset:8
	s_nop 0
	global_load_dword v5, v[6:7], off offset:8
	v_readlane_b32 s9, v82, 15
	s_andn2_b64 vcc, exec, s[8:9]
	s_cbranch_vccnz .LBB20_13
; %bb.11:                               ;   in Loop: Header=BB20_4 Depth=1
	v_readlane_b32 s8, v82, 18
	s_add_u32 s8, s8, s0
	v_readlane_b32 s9, v82, 19
	s_addc_u32 s9, s9, s1
	v_mov_b32_e32 v4, s9
	v_add_co_u32_e32 v2, vcc, s8, v2
	v_addc_co_u32_e32 v3, vcc, v4, v3, vcc
	s_bfm_b32 s8, s36, 0
.LBB20_12:                              ;   Parent Loop BB20_4 Depth=1
                                        ; =>  This Inner Loop Header: Depth=2
	global_load_dword v4, v[2:3], off
	v_add_co_u32_e32 v2, vcc, 4, v2
	s_add_i32 s8, s8, -1
	v_addc_co_u32_e32 v3, vcc, 0, v3, vcc
	s_cmp_eq_u32 s8, 0
	s_waitcnt vmcnt(0)
	v_add_u32_e32 v5, v4, v5
	s_cbranch_scc0 .LBB20_12
.LBB20_13:                              ;   in Loop: Header=BB20_4 Depth=1
	s_and_b32 s29, s2, 0xffff
	v_cmp_le_u32_e32 vcc, s3, v0
	s_waitcnt vmcnt(1)
	v_ashrrev_i32_e32 v2, 31, v1
                                        ; implicit-def: $vgpr3_vgpr4
	s_and_saveexec_b64 s[2:3], vcc
	s_xor_b64 s[2:3], exec, s[2:3]
	s_cbranch_execz .LBB20_15
; %bb.14:                               ;   in Loop: Header=BB20_4 Depth=1
	v_lshlrev_b64 v[1:2], 3, v[1:2]
	v_readlane_b32 s8, v82, 3
	v_mov_b32_e32 v3, s8
	v_readlane_b32 s8, v82, 2
	v_add_co_u32_e32 v1, vcc, s8, v1
	v_addc_co_u32_e32 v2, vcc, v3, v2, vcc
	v_add_co_u32_e32 v3, vcc, -8, v1
	v_addc_co_u32_e32 v4, vcc, -1, v2, vcc
                                        ; implicit-def: $vgpr5
                                        ; implicit-def: $vgpr1
.LBB20_15:                              ;   in Loop: Header=BB20_4 Depth=1
	s_andn2_saveexec_b64 s[2:3], s[2:3]
	s_cbranch_execz .LBB20_17
; %bb.16:                               ;   in Loop: Header=BB20_4 Depth=1
	s_waitcnt vmcnt(0)
	v_ashrrev_i32_e32 v3, 31, v5
	v_add_co_u32_e32 v1, vcc, v1, v5
	v_addc_co_u32_e32 v2, vcc, v2, v3, vcc
	v_lshlrev_b64 v[1:2], 3, v[1:2]
	v_readlane_b32 s8, v82, 3
	v_mov_b32_e32 v3, s8
	v_readlane_b32 s8, v82, 2
	v_add_co_u32_e32 v1, vcc, s8, v1
	v_addc_co_u32_e32 v2, vcc, v3, v2, vcc
	v_add_co_u32_e32 v3, vcc, -8, v1
	v_addc_co_u32_e32 v4, vcc, -1, v2, vcc
.LBB20_17:                              ;   in Loop: Header=BB20_4 Depth=1
	s_or_b64 exec, exec, s[2:3]
	s_add_u32 s2, s6, s46
	s_addc_u32 s3, s7, s47
	global_load_dword v1, v10, s[2:3] offset:8
	global_load_dwordx2 v[5:6], v[3:4], off
	v_readlane_b32 s2, v82, 16
	v_readlane_b32 s3, v82, 17
	s_andn2_b64 vcc, exec, s[2:3]
	s_waitcnt vmcnt(1)
	v_readfirstlane_b32 s31, v1
	s_cbranch_vccnz .LBB20_20
; %bb.18:                               ;   in Loop: Header=BB20_4 Depth=1
	v_readlane_b32 s2, v82, 22
	s_add_u32 s0, s2, s0
	v_readlane_b32 s2, v82, 23
	s_addc_u32 s1, s2, s1
	v_readlane_b32 s2, v82, 24
.LBB20_19:                              ;   Parent Loop BB20_4 Depth=1
                                        ; =>  This Inner Loop Header: Depth=2
	global_load_dword v1, v10, s[0:1]
	s_waitcnt vmcnt(0)
	v_readfirstlane_b32 s3, v1
	s_add_i32 s31, s3, s31
	s_add_u32 s0, s0, 4
	s_addc_u32 s1, s1, 0
	s_add_i32 s2, s2, -1
	s_cmp_eq_u32 s2, 0
	s_cbranch_scc0 .LBB20_19
.LBB20_20:                              ;   in Loop: Header=BB20_4 Depth=1
	s_add_u32 s0, s4, s46
	s_addc_u32 s1, s5, s47
	global_load_dword v1, v10, s[0:1] offset:8
	s_mov_b32 s54, 0
	s_waitcnt vmcnt(0)
	v_readfirstlane_b32 s56, v1
	s_ashr_i32 s57, s56, 31
	s_cmp_gt_i32 s31, 0
	s_cselect_b64 s[52:53], -1, 0
	s_cmp_lt_i32 s31, 1
	s_cbranch_scc1 .LBB20_23
; %bb.21:                               ;   in Loop: Header=BB20_4 Depth=1
	s_lshl_b64 s[0:1], s[56:57], 2
	v_readlane_b32 s2, v82, 25
	s_add_u32 s0, s2, s0
	v_readlane_b32 s2, v82, 26
	s_addc_u32 s1, s2, s1
	s_mov_b32 s2, s31
.LBB20_22:                              ;   Parent Loop BB20_4 Depth=1
                                        ; =>  This Inner Loop Header: Depth=2
	global_load_dword v1, v10, s[0:1]
	s_waitcnt vmcnt(0)
	v_readfirstlane_b32 s3, v1
	s_cmp_eq_u32 s3, 1
	s_cselect_b64 s[4:5], -1, 0
	s_cmp_lg_u64 s[4:5], 0
	s_addc_u32 s54, s54, 0
	s_add_i32 s2, s2, -1
	s_add_u32 s0, s0, 4
	s_addc_u32 s1, s1, 0
	s_cmp_eq_u32 s2, 0
	s_cbranch_scc0 .LBB20_22
.LBB20_23:                              ;   in Loop: Header=BB20_4 Depth=1
	s_mul_i32 s0, s56, s34
	s_ashr_i32 s1, s0, 31
	s_cmp_eq_u32 s54, 0
	s_cbranch_scc1 .LBB20_31
; %bb.24:                               ;   in Loop: Header=BB20_4 Depth=1
	s_add_i32 s6, s54, -1
	s_lshl_b32 s7, s29, 1
	s_lshl_b64 s[2:3], s[56:57], 2
	v_readlane_b32 s4, v82, 27
	s_add_u32 s14, s4, s2
	v_readlane_b32 s2, v82, 28
	s_addc_u32 s15, s2, s3
	s_lshl_b32 s16, s29, 3
	s_lshl_b64 s[2:3], s[56:57], 3
	v_readlane_b32 s4, v82, 30
	s_add_u32 s17, s4, s2
	v_readlane_b32 s2, v82, 32
	s_addc_u32 s20, s2, s3
	;; [unrolled: 6-line block ×3, first 2 shown]
	s_mov_b32 s36, 0
	s_mov_b64 s[2:3], 0
	s_branch .LBB20_26
.LBB20_25:                              ;   in Loop: Header=BB20_26 Depth=2
	s_or_b64 exec, exec, s[4:5]
	s_add_i32 s36, s36, 1
	s_xor_b64 s[2:3], s[2:3], -1
	s_cmp_eq_u32 s36, s54
	s_waitcnt vmcnt(0)
	s_barrier
	s_cbranch_scc1 .LBB20_31
.LBB20_26:                              ;   Parent Loop BB20_4 Depth=1
                                        ; =>  This Loop Header: Depth=2
                                        ;       Child Loop BB20_29 Depth 3
	v_and_or_b32 v9, s36, 1, v62
	v_cmp_gt_i32_e32 vcc, s6, v9
	s_and_saveexec_b64 s[4:5], vcc
	s_cbranch_execz .LBB20_25
; %bb.27:                               ;   in Loop: Header=BB20_26 Depth=2
	v_cndmask_b32_e64 v1, 0, 1, s[2:3]
	v_add_u32_e32 v1, v62, v1
	v_lshlrev_b32_e32 v2, 2, v1
	v_mov_b32_e32 v3, s15
	v_add_co_u32_e32 v7, vcc, s14, v2
	v_addc_co_u32_e32 v8, vcc, 0, v3, vcc
	v_lshlrev_b32_e32 v1, 3, v1
	v_mov_b32_e32 v2, s20
	v_add_co_u32_e32 v13, vcc, s17, v1
	v_addc_co_u32_e32 v14, vcc, 0, v2, vcc
	v_mov_b32_e32 v2, s35
	v_add_co_u32_e32 v15, vcc, s33, v1
	v_addc_co_u32_e32 v16, vcc, 0, v2, vcc
	s_mov_b64 s[8:9], 0
	s_mov_b64 s[10:11], 0
	s_branch .LBB20_29
.LBB20_28:                              ;   in Loop: Header=BB20_29 Depth=3
	s_or_b64 exec, exec, s[12:13]
	v_add_u32_e32 v9, s7, v9
	s_add_u32 s10, s10, s30
	s_addc_u32 s11, s11, 0
	v_cmp_le_i32_e32 vcc, s6, v9
	s_or_b64 s[8:9], vcc, s[8:9]
	v_add_co_u32_e32 v7, vcc, s16, v7
	v_addc_co_u32_e32 v8, vcc, 0, v8, vcc
	s_andn2_b64 exec, exec, s[8:9]
	s_cbranch_execz .LBB20_25
.LBB20_29:                              ;   Parent Loop BB20_4 Depth=1
                                        ;     Parent Loop BB20_26 Depth=2
                                        ; =>    This Inner Loop Header: Depth=3
	v_mov_b32_e32 v1, s11
	v_add_co_u32_e32 v11, vcc, s10, v15
	v_addc_co_u32_e32 v12, vcc, v16, v1, vcc
	global_load_dwordx4 v[1:4], v[11:12], off
	s_waitcnt vmcnt(0)
	v_cmp_gt_f64_e32 vcc, v[1:2], v[3:4]
	s_and_saveexec_b64 s[12:13], vcc
	s_cbranch_execz .LBB20_28
; %bb.30:                               ;   in Loop: Header=BB20_29 Depth=3
	v_mov_b32_e32 v17, v3
	v_mov_b32_e32 v18, v4
	;; [unrolled: 1-line block ×5, first 2 shown]
	v_add_co_u32_e32 v21, vcc, s10, v13
	global_store_dwordx4 v[11:12], v[17:20], off
	v_addc_co_u32_e32 v22, vcc, v14, v1, vcc
	global_load_dwordx4 v[1:4], v[21:22], off offset:-8
	global_load_dwordx2 v[11:12], v[7:8], off
	s_waitcnt vmcnt(1)
	v_mov_b32_e32 v17, v3
	v_mov_b32_e32 v18, v4
	;; [unrolled: 1-line block ×4, first 2 shown]
	s_waitcnt vmcnt(0)
	v_mov_b32_e32 v23, v12
	v_mov_b32_e32 v24, v11
	global_store_dwordx4 v[21:22], v[17:20], off offset:-8
	global_store_dwordx2 v[7:8], v[23:24], off
	s_branch .LBB20_28
.LBB20_31:                              ;   in Loop: Header=BB20_4 Depth=1
	s_lshl_b64 s[8:9], s[0:1], 3
	v_readlane_b32 s0, v82, 10
	s_add_u32 s35, s0, s8
	v_readlane_b32 s0, v82, 11
	s_addc_u32 s6, s0, s9
	v_cmp_gt_u32_e64 s[0:1], s54, v0
	s_and_saveexec_b64 s[4:5], s[0:1]
	s_cbranch_execz .LBB20_38
; %bb.32:                               ;   in Loop: Header=BB20_4 Depth=1
	s_mul_i32 s7, s31, s34
	s_cmp_lt_i32 s34, s7
	v_readlane_b32 s2, v82, 33
	s_cselect_b64 s[10:11], -1, 0
	s_add_u32 s16, s2, s8
	v_readlane_b32 s2, v82, 34
	s_addc_u32 s17, s2, s9
	s_mov_b64 s[12:13], 0
	v_mov_b32_e32 v1, v64
	v_mov_b32_e32 v9, v0
	s_branch .LBB20_34
.LBB20_33:                              ;   in Loop: Header=BB20_34 Depth=2
	v_add_u32_e32 v9, s29, v9
	v_cmp_le_u32_e32 vcc, s54, v9
	s_or_b64 s[12:13], vcc, s[12:13]
	v_add_u32_e32 v1, s29, v1
	s_andn2_b64 exec, exec, s[12:13]
	s_cbranch_execz .LBB20_38
.LBB20_34:                              ;   Parent Loop BB20_4 Depth=1
                                        ; =>  This Loop Header: Depth=2
                                        ;       Child Loop BB20_36 Depth 3
	s_andn2_b64 vcc, exec, s[10:11]
	s_cbranch_vccnz .LBB20_33
; %bb.35:                               ;   in Loop: Header=BB20_34 Depth=2
	v_lshlrev_b64 v[2:3], 3, v[9:10]
	v_mov_b32_e32 v4, s6
	v_add_co_u32_e32 v2, vcc, s35, v2
	v_addc_co_u32_e32 v3, vcc, v4, v3, vcc
	global_load_dwordx2 v[3:4], v[2:3], off
	v_ashrrev_i32_e32 v2, 31, v1
	v_lshlrev_b64 v[7:8], 3, v[1:2]
	v_mov_b32_e32 v2, s17
	v_add_co_u32_e32 v7, vcc, s16, v7
	v_addc_co_u32_e32 v8, vcc, v2, v8, vcc
	v_add_u32_e32 v2, s7, v9
	v_add_u32_e32 v11, s34, v9
	s_mov_b64 s[14:15], 0
	s_waitcnt vmcnt(0)
.LBB20_36:                              ;   Parent Loop BB20_4 Depth=1
                                        ;     Parent Loop BB20_34 Depth=2
                                        ; =>    This Inner Loop Header: Depth=3
	v_add_u32_e32 v11, s34, v11
	global_store_dwordx2 v[7:8], v[3:4], off
	v_mov_b32_e32 v12, s19
	v_add_co_u32_e32 v7, vcc, s18, v7
	v_cmp_ge_i32_e64 s[2:3], v11, v2
	s_or_b64 s[14:15], s[2:3], s[14:15]
	v_addc_co_u32_e32 v8, vcc, v8, v12, vcc
	s_andn2_b64 exec, exec, s[14:15]
	s_cbranch_execnz .LBB20_36
; %bb.37:                               ;   in Loop: Header=BB20_34 Depth=2
	s_or_b64 exec, exec, s[14:15]
	s_branch .LBB20_33
.LBB20_38:                              ;   in Loop: Header=BB20_4 Depth=1
	s_or_b64 exec, exec, s[4:5]
	v_cmp_gt_i32_e32 vcc, s31, v0
	s_and_saveexec_b64 s[10:11], vcc
	s_cbranch_execz .LBB20_41
; %bb.39:                               ;   in Loop: Header=BB20_4 Depth=1
	s_lshl_b64 s[2:3], s[56:57], 3
	v_mov_b32_e32 v2, s3
	v_add_co_u32_e64 v1, s[2:3], s2, v65
	v_addc_co_u32_e64 v2, s[2:3], 0, v2, s[2:3]
	s_lshl_b32 s7, s29, 3
	s_mov_b64 s[12:13], 0
	v_mov_b32_e32 v3, v0
.LBB20_40:                              ;   Parent Loop BB20_4 Depth=1
                                        ; =>  This Inner Loop Header: Depth=2
	v_mov_b32_e32 v4, s38
	v_add_co_u32_e64 v7, s[2:3], s45, v1
	v_addc_co_u32_e64 v8, s[2:3], v4, v2, s[2:3]
	global_load_dwordx2 v[7:8], v[7:8], off
	v_mov_b32_e32 v4, s39
	v_add_co_u32_e64 v11, s[2:3], s41, v1
	v_add_co_u32_e64 v1, s[4:5], s7, v1
	v_add_u32_e32 v3, s29, v3
	v_addc_co_u32_e64 v12, s[2:3], v4, v2, s[2:3]
	v_addc_co_u32_e64 v2, s[2:3], 0, v2, s[4:5]
	v_cmp_le_i32_e64 s[2:3], s31, v3
	s_or_b64 s[12:13], s[2:3], s[12:13]
	s_waitcnt vmcnt(0)
	global_store_dwordx2 v[11:12], v[7:8], off
	s_andn2_b64 exec, exec, s[12:13]
	s_cbranch_execnz .LBB20_40
.LBB20_41:                              ;   in Loop: Header=BB20_4 Depth=1
	s_or_b64 exec, exec, s[10:11]
	s_lshl_b64 s[60:61], s[56:57], 3
	v_readlane_b32 s2, v82, 29
	s_add_u32 s42, s2, s60
	v_readlane_b32 s2, v82, 31
	s_addc_u32 s43, s2, s61
	s_waitcnt vmcnt(0)
	s_barrier
	s_and_saveexec_b64 s[62:63], vcc
	s_cbranch_execz .LBB20_238
; %bb.42:                               ;   in Loop: Header=BB20_4 Depth=1
	v_add_f64 v[11:12], v[5:6], v[5:6]
	s_add_u32 s40, s41, s60
	s_addc_u32 s7, s39, s61
	v_readlane_b32 s10, v82, 6
	v_readlane_b32 s11, v82, 34
	s_mov_b64 s[78:79], 0
	v_mov_b32_e32 v19, v66
	v_mov_b32_e32 v9, v0
	v_cmp_gt_f64_e64 s[2:3], 0, v[11:12]
	v_xor_b32_e32 v1, 0x80000000, v12
	v_cndmask_b32_e64 v12, v12, v1, s[2:3]
	v_div_scale_f64 v[1:2], s[4:5], v[11:12], v[11:12], 1.0
	s_lshl_b64 s[4:5], s[56:57], 2
	s_add_u32 s33, s10, s4
	v_readlane_b32 s4, v82, 8
	s_addc_u32 s44, s4, s5
	s_cmp_lt_i32 s54, 1
	s_cselect_b64 s[64:65], -1, 0
	s_add_i32 s66, s54, -1
	s_add_i32 s30, s54, -2
	s_cmp_gt_u32 s54, 2
	s_cselect_b64 s[68:69], -1, 0
	s_ashr_i32 s55, s54, 31
	s_lshl_b64 s[70:71], s[54:55], 3
	s_add_u32 s72, s42, s70
	s_addc_u32 s73, s43, s71
	v_rcp_f64_e32 v[3:4], v[1:2]
	s_cmp_gt_u32 s54, 1
	v_readlane_b32 s10, v82, 33
	s_cselect_b64 s[74:75], -1, 0
	s_add_u32 s55, s10, s8
	s_addc_u32 s36, s11, s9
	s_ashr_i32 s67, s66, 31
	s_lshl_b64 s[4:5], s[66:67], 3
	v_mul_f64 v[13:14], v[11:12], 0.5
	s_add_u32 s8, s8, s4
	s_addc_u32 s9, s9, s5
	s_add_u32 s8, s10, s8
	s_addc_u32 s67, s11, s9
	v_writelane_b32 v82, s8, 42
	s_add_u32 s4, s60, s4
	s_addc_u32 s5, s61, s5
	v_fma_f64 v[5:6], -v[1:2], v[3:4], 1.0
	v_readlane_b32 s8, v82, 29
	s_add_u32 s76, s8, s4
	v_readlane_b32 s4, v82, 31
	s_addc_u32 s77, s4, s5
	v_fma_f64 v[3:4], v[3:4], v[5:6], v[3:4]
	v_div_scale_f64 v[5:6], vcc, 1.0, v[11:12], 1.0
	v_fma_f64 v[7:8], -v[1:2], v[3:4], 1.0
	v_fma_f64 v[3:4], v[3:4], v[7:8], v[3:4]
	v_mul_f64 v[7:8], v[5:6], v[3:4]
	v_fma_f64 v[1:2], -v[1:2], v[7:8], v[5:6]
	v_div_fmas_f64 v[1:2], v[1:2], v[3:4], v[7:8]
	v_div_fixup_f64 v[15:16], v[1:2], v[11:12], 1.0
	v_add_f64 v[17:18], v[15:16], v[15:16]
	s_branch .LBB20_44
.LBB20_43:                              ;   in Loop: Header=BB20_44 Depth=2
	s_or_b64 exec, exec, s[80:81]
	v_add_u32_e32 v9, s29, v9
	v_cmp_le_i32_e32 vcc, s31, v9
	s_mul_i32 s4, s34, s29
	s_or_b64 s[78:79], vcc, s[78:79]
	v_add_u32_e32 v19, s4, v19
	s_andn2_b64 exec, exec, s[78:79]
	s_cbranch_execz .LBB20_238
.LBB20_44:                              ;   Parent Loop BB20_4 Depth=1
                                        ; =>  This Loop Header: Depth=2
                                        ;       Child Loop BB20_49 Depth 3
                                        ;       Child Loop BB20_56 Depth 3
	;; [unrolled: 1-line block ×10, first 2 shown]
                                        ;         Child Loop BB20_162 Depth 4
                                        ;         Child Loop BB20_166 Depth 4
                                        ;       Child Loop BB20_172 Depth 3
                                        ;       Child Loop BB20_188 Depth 3
                                        ;       Child Loop BB20_192 Depth 3
                                        ;       Child Loop BB20_213 Depth 3
                                        ;       Child Loop BB20_218 Depth 3
                                        ;         Child Loop BB20_232 Depth 4
	v_lshlrev_b64 v[1:2], 2, v[9:10]
	v_mov_b32_e32 v3, s44
	v_add_co_u32_e32 v1, vcc, s33, v1
	v_addc_co_u32_e32 v2, vcc, v3, v2, vcc
	global_load_dword v1, v[1:2], off offset:8
	s_waitcnt vmcnt(0)
	v_cmp_eq_u32_e32 vcc, 1, v1
	s_and_saveexec_b64 s[80:81], vcc
	s_cbranch_execz .LBB20_43
; %bb.45:                               ;   in Loop: Header=BB20_44 Depth=2
	v_mul_lo_u32 v3, v9, s34
	s_andn2_b64 vcc, exec, s[64:65]
	s_mov_b64 s[4:5], -1
                                        ; implicit-def: $vgpr1
	s_cbranch_vccnz .LBB20_47
; %bb.46:                               ;   in Loop: Header=BB20_44 Depth=2
	v_mul_lo_u32 v1, v9, s34
	s_mov_b64 s[4:5], 0
.LBB20_47:                              ;   in Loop: Header=BB20_44 Depth=2
	v_lshlrev_b64 v[4:5], 3, v[9:10]
	v_mov_b32_e32 v2, s7
	v_add_co_u32_e32 v21, vcc, s40, v4
	v_addc_co_u32_e32 v22, vcc, v2, v5, vcc
	s_andn2_b64 vcc, exec, s[4:5]
	v_mov_b32_e32 v5, 0
	s_cbranch_vccnz .LBB20_51
; %bb.48:                               ;   in Loop: Header=BB20_44 Depth=2
	global_load_dwordx2 v[1:2], v[21:22], off
	v_mov_b32_e32 v5, 0
	s_mov_b64 s[8:9], 0
	s_waitcnt vmcnt(0)
	v_xor_b32_e32 v4, 0x80000000, v2
	v_cndmask_b32_e64 v2, v2, v4, s[2:3]
	v_mov_b32_e32 v4, s54
.LBB20_49:                              ;   Parent Loop BB20_4 Depth=1
                                        ;     Parent Loop BB20_44 Depth=2
                                        ; =>    This Inner Loop Header: Depth=3
	v_lshrrev_b32_e32 v8, 1, v4
	v_add_u32_e32 v23, v5, v8
	v_add_u32_e32 v6, v23, v3
	v_ashrrev_i32_e32 v7, 31, v6
	v_lshlrev_b64 v[6:7], 3, v[6:7]
	v_mov_b32_e32 v20, s6
	v_add_co_u32_e32 v6, vcc, s35, v6
	v_addc_co_u32_e32 v7, vcc, v20, v7, vcc
	global_load_dwordx2 v[6:7], v[6:7], off
	v_xad_u32 v4, v8, -1, v4
	s_waitcnt vmcnt(0)
	v_cmp_lt_f64_e32 vcc, v[6:7], v[1:2]
	v_add_u32_e32 v6, 1, v23
	v_cndmask_b32_e32 v4, v8, v4, vcc
	v_cmp_gt_i32_e64 s[4:5], 1, v4
	s_or_b64 s[8:9], s[4:5], s[8:9]
	v_cndmask_b32_e32 v5, v5, v6, vcc
	s_andn2_b64 exec, exec, s[8:9]
	s_cbranch_execnz .LBB20_49
; %bb.50:                               ;   in Loop: Header=BB20_44 Depth=2
	s_or_b64 exec, exec, s[8:9]
	v_mov_b32_e32 v1, v3
.LBB20_51:                              ;   in Loop: Header=BB20_44 Depth=2
	v_ashrrev_i32_e32 v20, 31, v19
	v_lshlrev_b64 v[40:41], 3, v[19:20]
	v_mov_b32_e32 v2, s36
	v_add_co_u32_e32 v23, vcc, s55, v40
	v_addc_co_u32_e32 v24, vcc, v2, v41, vcc
	v_ashrrev_i32_e32 v2, 31, v1
	v_lshlrev_b64 v[1:2], 3, v[1:2]
	v_mov_b32_e32 v3, s6
	v_add_co_u32_e64 v20, s[4:5], s35, v1
	v_cmp_ne_u32_e32 vcc, s66, v5
	v_addc_co_u32_e64 v60, s[4:5], v3, v2, s[4:5]
                                        ; implicit-def: $vgpr6_vgpr7
	s_and_saveexec_b64 s[4:5], vcc
	s_xor_b64 s[82:83], exec, s[4:5]
	s_cbranch_execnz .LBB20_54
; %bb.52:                               ;   in Loop: Header=BB20_44 Depth=2
	s_andn2_saveexec_b64 s[14:15], s[82:83]
	s_cbranch_execnz .LBB20_170
.LBB20_53:                              ;   in Loop: Header=BB20_44 Depth=2
	s_or_b64 exec, exec, s[14:15]
	global_store_dwordx2 v[21:22], v[6:7], off
	s_and_b64 exec, exec, s[2:3]
	s_cbranch_execz .LBB20_43
	s_branch .LBB20_237
.LBB20_54:                              ;   in Loop: Header=BB20_44 Depth=2
	v_mov_b32_e32 v6, v10
	v_lshlrev_b64 v[27:28], 3, v[5:6]
	v_add_co_u32_e32 v25, vcc, v20, v27
	v_addc_co_u32_e32 v26, vcc, v60, v28, vcc
	global_load_dwordx4 v[1:4], v[25:26], off
	v_cmp_ne_u32_e32 vcc, 0, v5
	s_waitcnt vmcnt(0)
	v_add_f64 v[6:7], v[1:2], v[3:4]
	v_mul_f64 v[29:30], v[6:7], 0.5
	v_mov_b32_e32 v6, 0
	v_mov_b32_e32 v7, 0
	s_and_saveexec_b64 s[8:9], vcc
	s_cbranch_execz .LBB20_58
; %bb.55:                               ;   in Loop: Header=BB20_44 Depth=2
	v_mov_b32_e32 v6, 0
	v_mov_b32_e32 v32, v24
	;; [unrolled: 1-line block ×3, first 2 shown]
	s_mov_b64 s[10:11], 0
	s_mov_b64 s[12:13], s[42:43]
	v_mov_b32_e32 v31, v23
	v_mov_b32_e32 v8, v5
.LBB20_56:                              ;   Parent Loop BB20_4 Depth=1
                                        ;     Parent Loop BB20_44 Depth=2
                                        ; =>    This Inner Loop Header: Depth=3
	global_load_dwordx2 v[33:34], v[31:32], off
	global_load_dwordx2 v[35:36], v10, s[12:13]
	v_add_u32_e32 v8, -1, v8
	s_add_u32 s12, s12, 8
	s_addc_u32 s13, s13, 0
	s_waitcnt vmcnt(1)
	v_add_f64 v[33:34], v[33:34], -v[29:30]
	s_waitcnt vmcnt(0)
	v_div_scale_f64 v[37:38], s[4:5], v[33:34], v[33:34], v[35:36]
	v_cmp_eq_u32_e64 s[4:5], 0, v8
	s_or_b64 s[10:11], s[4:5], s[10:11]
	v_rcp_f64_e32 v[42:43], v[37:38]
	v_fma_f64 v[44:45], -v[37:38], v[42:43], 1.0
	v_fma_f64 v[42:43], v[42:43], v[44:45], v[42:43]
	v_div_scale_f64 v[44:45], vcc, v[35:36], v[33:34], v[35:36]
	v_fma_f64 v[46:47], -v[37:38], v[42:43], 1.0
	v_fma_f64 v[42:43], v[42:43], v[46:47], v[42:43]
	v_mul_f64 v[46:47], v[44:45], v[42:43]
	v_fma_f64 v[37:38], -v[37:38], v[46:47], v[44:45]
	v_div_fmas_f64 v[37:38], v[37:38], v[42:43], v[46:47]
	v_add_co_u32_e32 v31, vcc, 8, v31
	v_addc_co_u32_e32 v32, vcc, 0, v32, vcc
	v_div_fixup_f64 v[33:34], v[37:38], v[33:34], v[35:36]
	v_fma_f64 v[6:7], v[35:36], v[33:34], v[6:7]
	s_andn2_b64 exec, exec, s[10:11]
	s_cbranch_execnz .LBB20_56
; %bb.57:                               ;   in Loop: Header=BB20_44 Depth=2
	s_or_b64 exec, exec, s[10:11]
.LBB20_58:                              ;   in Loop: Header=BB20_44 Depth=2
	s_or_b64 exec, exec, s[8:9]
	v_mov_b32_e32 v32, v4
	v_add_u32_e32 v33, 1, v5
	v_mov_b32_e32 v34, 0
	v_mov_b32_e32 v31, v3
	;; [unrolled: 1-line block ×3, first 2 shown]
	v_cmp_gt_i32_e32 vcc, s66, v33
	s_and_saveexec_b64 s[4:5], vcc
	s_cbranch_execz .LBB20_62
; %bb.59:                               ;   in Loop: Header=BB20_44 Depth=2
	v_mov_b32_e32 v34, 0
	v_mov_b32_e32 v35, 0
	s_mov_b64 s[8:9], 0
	s_mov_b32 s20, s66
.LBB20_60:                              ;   Parent Loop BB20_4 Depth=1
                                        ;     Parent Loop BB20_44 Depth=2
                                        ; =>    This Inner Loop Header: Depth=3
	s_lshl_b64 s[10:11], s[20:21], 3
	v_mov_b32_e32 v8, s11
	v_add_co_u32_e32 v36, vcc, s10, v20
	v_addc_co_u32_e32 v37, vcc, v60, v8, vcc
	global_load_dwordx2 v[36:37], v[36:37], off
	s_add_u32 s10, s42, s10
	s_addc_u32 s11, s43, s11
	global_load_dwordx2 v[38:39], v10, s[10:11]
	s_add_i32 s20, s20, -1
	s_waitcnt vmcnt(1)
	v_add_f64 v[36:37], v[36:37], -v[29:30]
	s_waitcnt vmcnt(0)
	v_div_scale_f64 v[42:43], s[10:11], v[36:37], v[36:37], v[38:39]
	v_rcp_f64_e32 v[44:45], v[42:43]
	v_fma_f64 v[46:47], -v[42:43], v[44:45], 1.0
	v_fma_f64 v[44:45], v[44:45], v[46:47], v[44:45]
	v_div_scale_f64 v[46:47], vcc, v[38:39], v[36:37], v[38:39]
	v_fma_f64 v[48:49], -v[42:43], v[44:45], 1.0
	v_fma_f64 v[44:45], v[44:45], v[48:49], v[44:45]
	v_mul_f64 v[48:49], v[46:47], v[44:45]
	v_fma_f64 v[42:43], -v[42:43], v[48:49], v[46:47]
	v_div_fmas_f64 v[42:43], v[42:43], v[44:45], v[48:49]
	v_cmp_le_u32_e32 vcc, s20, v33
	s_or_b64 s[8:9], vcc, s[8:9]
	v_div_fixup_f64 v[36:37], v[42:43], v[36:37], v[38:39]
	v_fma_f64 v[34:35], v[38:39], v[36:37], v[34:35]
	s_andn2_b64 exec, exec, s[8:9]
	s_cbranch_execnz .LBB20_60
; %bb.61:                               ;   in Loop: Header=BB20_44 Depth=2
	s_or_b64 exec, exec, s[8:9]
.LBB20_62:                              ;   in Loop: Header=BB20_44 Depth=2
	s_or_b64 exec, exec, s[4:5]
	v_mov_b32_e32 v8, s43
	v_add_co_u32_e32 v27, vcc, s42, v27
	v_addc_co_u32_e32 v28, vcc, v8, v28, vcc
	global_load_dwordx4 v[36:39], v[27:28], off
	v_add_f64 v[29:30], v[3:4], -v[1:2]
	v_add_f64 v[6:7], v[15:16], v[6:7]
	v_add_f64 v[34:35], v[6:7], v[34:35]
	s_waitcnt vmcnt(0)
	v_mul_f64 v[36:37], v[36:37], v[36:37]
	v_fma_f64 v[42:43], v[38:39], v[38:39], -v[36:37]
	v_mul_f64 v[38:39], v[38:39], v[38:39]
	v_add_f64 v[42:43], v[42:43], v[42:43]
	v_div_scale_f64 v[44:45], s[4:5], v[29:30], v[29:30], v[42:43]
	v_rcp_f64_e32 v[46:47], v[44:45]
	v_fma_f64 v[48:49], -v[44:45], v[46:47], 1.0
	v_fma_f64 v[46:47], v[46:47], v[48:49], v[46:47]
	v_div_scale_f64 v[48:49], vcc, v[42:43], v[29:30], v[42:43]
	v_fma_f64 v[50:51], -v[44:45], v[46:47], 1.0
	v_fma_f64 v[46:47], v[46:47], v[50:51], v[46:47]
	v_mul_f64 v[50:51], v[48:49], v[46:47]
	v_fma_f64 v[44:45], -v[44:45], v[50:51], v[48:49]
	v_mul_f64 v[48:49], v[29:30], v[34:35]
	v_div_fmas_f64 v[44:45], v[44:45], v[46:47], v[50:51]
	v_div_fixup_f64 v[6:7], v[44:45], v[29:30], v[42:43]
                                        ; implicit-def: $vgpr42_vgpr43
                                        ; implicit-def: $vgpr44_vgpr45
	v_add_f64 v[6:7], v[34:35], v[6:7]
	v_cmp_lt_f64_e64 s[4:5], 0, v[6:7]
	v_cmp_nlt_f64_e64 s[12:13], 0, v[6:7]
                                        ; implicit-def: $vgpr6_vgpr7
	s_and_saveexec_b64 s[8:9], s[12:13]
	s_xor_b64 s[10:11], exec, s[8:9]
	s_cbranch_execz .LBB20_68
; %bb.63:                               ;   in Loop: Header=BB20_44 Depth=2
	v_mul_f64 v[5:6], v[29:30], v[38:39]
	v_add_f64 v[7:8], v[48:49], -v[36:37]
	v_mul_f64 v[36:37], v[5:6], 4.0
	v_add_f64 v[7:8], v[7:8], -v[38:39]
	v_mul_f64 v[36:37], v[34:35], v[36:37]
	v_cmp_ngt_f64_e64 s[8:9], 0, v[7:8]
	v_fma_f64 v[36:37], v[7:8], v[7:8], v[36:37]
	v_cmp_lt_f64_e64 vcc, |v[36:37]|, s[22:23]
	v_cndmask_b32_e32 v38, 0, v68, vcc
	v_ldexp_f64 v[36:37], |v[36:37]|, v38
	v_rsq_f64_e32 v[38:39], v[36:37]
	v_mul_f64 v[42:43], v[36:37], v[38:39]
	v_mul_f64 v[38:39], v[38:39], 0.5
	v_fma_f64 v[44:45], -v[38:39], v[42:43], 0.5
	v_fma_f64 v[42:43], v[42:43], v[44:45], v[42:43]
	v_fma_f64 v[38:39], v[38:39], v[44:45], v[38:39]
	v_fma_f64 v[44:45], -v[42:43], v[42:43], v[36:37]
	v_fma_f64 v[42:43], v[44:45], v[38:39], v[42:43]
	v_fma_f64 v[44:45], -v[42:43], v[42:43], v[36:37]
	v_fma_f64 v[38:39], v[44:45], v[38:39], v[42:43]
	v_cndmask_b32_e32 v42, 0, v69, vcc
	v_cmp_class_f64_e32 vcc, v[36:37], v67
	v_ldexp_f64 v[38:39], v[38:39], v42
                                        ; implicit-def: $vgpr42_vgpr43
	v_cndmask_b32_e32 v37, v39, v37, vcc
	v_cndmask_b32_e32 v36, v38, v36, vcc
	s_and_saveexec_b64 s[14:15], s[8:9]
	s_xor_b64 s[8:9], exec, s[14:15]
	s_cbranch_execz .LBB20_65
; %bb.64:                               ;   in Loop: Header=BB20_44 Depth=2
	v_add_f64 v[5:6], v[7:8], v[36:37]
	v_add_f64 v[7:8], v[34:35], v[34:35]
	v_div_scale_f64 v[34:35], s[14:15], v[7:8], v[7:8], -v[5:6]
	v_div_scale_f64 v[42:43], vcc, -v[5:6], v[7:8], -v[5:6]
	v_rcp_f64_e32 v[36:37], v[34:35]
	v_fma_f64 v[38:39], -v[34:35], v[36:37], 1.0
	v_fma_f64 v[36:37], v[36:37], v[38:39], v[36:37]
	v_fma_f64 v[38:39], -v[34:35], v[36:37], 1.0
	v_fma_f64 v[36:37], v[36:37], v[38:39], v[36:37]
	v_mul_f64 v[38:39], v[42:43], v[36:37]
	v_fma_f64 v[34:35], -v[34:35], v[38:39], v[42:43]
	v_div_fmas_f64 v[34:35], v[34:35], v[36:37], v[38:39]
                                        ; implicit-def: $vgpr36_vgpr37
	v_div_fixup_f64 v[42:43], v[34:35], v[7:8], -v[5:6]
                                        ; implicit-def: $vgpr5_vgpr6
                                        ; implicit-def: $vgpr7_vgpr8
.LBB20_65:                              ;   in Loop: Header=BB20_44 Depth=2
	s_andn2_saveexec_b64 s[8:9], s[8:9]
	s_cbranch_execz .LBB20_67
; %bb.66:                               ;   in Loop: Header=BB20_44 Depth=2
	v_add_f64 v[5:6], v[5:6], v[5:6]
	v_add_f64 v[7:8], v[7:8], -v[36:37]
	v_div_scale_f64 v[34:35], s[14:15], v[7:8], v[7:8], v[5:6]
	v_div_scale_f64 v[42:43], vcc, v[5:6], v[7:8], v[5:6]
	v_rcp_f64_e32 v[36:37], v[34:35]
	v_fma_f64 v[38:39], -v[34:35], v[36:37], 1.0
	v_fma_f64 v[36:37], v[36:37], v[38:39], v[36:37]
	v_fma_f64 v[38:39], -v[34:35], v[36:37], 1.0
	v_fma_f64 v[36:37], v[36:37], v[38:39], v[36:37]
	v_mul_f64 v[38:39], v[42:43], v[36:37]
	v_fma_f64 v[34:35], -v[34:35], v[38:39], v[42:43]
	v_div_fmas_f64 v[34:35], v[34:35], v[36:37], v[38:39]
	v_div_fixup_f64 v[42:43], v[34:35], v[7:8], v[5:6]
.LBB20_67:                              ;   in Loop: Header=BB20_44 Depth=2
	s_or_b64 exec, exec, s[8:9]
	v_mul_f64 v[44:45], v[29:30], -0.5
	v_add_f64 v[6:7], v[3:4], v[42:43]
                                        ; implicit-def: $vgpr48_vgpr49
                                        ; implicit-def: $vgpr36_vgpr37
                                        ; implicit-def: $vgpr38_vgpr39
                                        ; implicit-def: $vgpr34_vgpr35
                                        ; implicit-def: $vgpr5
.LBB20_68:                              ;   in Loop: Header=BB20_44 Depth=2
	s_or_saveexec_b64 s[10:11], s[10:11]
	v_mov_b32_e32 v46, 0
	v_mov_b32_e32 v47, 0
	s_xor_b64 exec, exec, s[10:11]
	s_cbranch_execz .LBB20_74
; %bb.69:                               ;   in Loop: Header=BB20_44 Depth=2
	v_mul_f64 v[6:7], v[29:30], v[36:37]
	v_add_f64 v[31:32], v[48:49], v[36:37]
	v_mul_f64 v[36:37], v[6:7], -4.0
	v_add_f64 v[31:32], v[31:32], v[38:39]
	v_mul_f64 v[36:37], v[34:35], v[36:37]
	v_cmp_nlt_f64_e64 s[8:9], 0, v[31:32]
	v_fma_f64 v[36:37], v[31:32], v[31:32], v[36:37]
	v_cmp_lt_f64_e64 vcc, |v[36:37]|, s[22:23]
	v_cndmask_b32_e32 v8, 0, v68, vcc
	v_ldexp_f64 v[36:37], |v[36:37]|, v8
	v_cndmask_b32_e32 v8, 0, v69, vcc
	v_rsq_f64_e32 v[38:39], v[36:37]
	v_cmp_class_f64_e32 vcc, v[36:37], v67
	v_mul_f64 v[42:43], v[36:37], v[38:39]
	v_mul_f64 v[38:39], v[38:39], 0.5
	v_fma_f64 v[44:45], -v[38:39], v[42:43], 0.5
	v_fma_f64 v[42:43], v[42:43], v[44:45], v[42:43]
	v_fma_f64 v[38:39], v[38:39], v[44:45], v[38:39]
	v_fma_f64 v[44:45], -v[42:43], v[42:43], v[36:37]
	v_fma_f64 v[42:43], v[44:45], v[38:39], v[42:43]
	v_fma_f64 v[44:45], -v[42:43], v[42:43], v[36:37]
	v_fma_f64 v[38:39], v[44:45], v[38:39], v[42:43]
                                        ; implicit-def: $vgpr42_vgpr43
	v_ldexp_f64 v[38:39], v[38:39], v8
	v_cndmask_b32_e32 v37, v39, v37, vcc
	v_cndmask_b32_e32 v36, v38, v36, vcc
	s_and_saveexec_b64 s[14:15], s[8:9]
	s_xor_b64 s[8:9], exec, s[14:15]
	s_cbranch_execz .LBB20_71
; %bb.70:                               ;   in Loop: Header=BB20_44 Depth=2
	v_add_f64 v[6:7], v[31:32], -v[36:37]
	v_add_f64 v[31:32], v[34:35], v[34:35]
	v_div_scale_f64 v[33:34], s[14:15], v[31:32], v[31:32], v[6:7]
	v_div_scale_f64 v[42:43], vcc, v[6:7], v[31:32], v[6:7]
	v_rcp_f64_e32 v[35:36], v[33:34]
	v_fma_f64 v[37:38], -v[33:34], v[35:36], 1.0
	v_fma_f64 v[35:36], v[35:36], v[37:38], v[35:36]
	v_fma_f64 v[37:38], -v[33:34], v[35:36], 1.0
	v_fma_f64 v[35:36], v[35:36], v[37:38], v[35:36]
	v_mul_f64 v[37:38], v[42:43], v[35:36]
	v_fma_f64 v[33:34], -v[33:34], v[37:38], v[42:43]
	v_div_fmas_f64 v[33:34], v[33:34], v[35:36], v[37:38]
                                        ; implicit-def: $vgpr36_vgpr37
	v_div_fixup_f64 v[42:43], v[33:34], v[31:32], v[6:7]
                                        ; implicit-def: $vgpr6_vgpr7
                                        ; implicit-def: $vgpr31_vgpr32
.LBB20_71:                              ;   in Loop: Header=BB20_44 Depth=2
	s_andn2_saveexec_b64 s[8:9], s[8:9]
	s_cbranch_execz .LBB20_73
; %bb.72:                               ;   in Loop: Header=BB20_44 Depth=2
	v_add_f64 v[6:7], v[6:7], v[6:7]
	v_add_f64 v[31:32], v[31:32], v[36:37]
	v_div_scale_f64 v[33:34], s[14:15], v[31:32], v[31:32], v[6:7]
	v_div_scale_f64 v[42:43], vcc, v[6:7], v[31:32], v[6:7]
	v_rcp_f64_e32 v[35:36], v[33:34]
	v_fma_f64 v[37:38], -v[33:34], v[35:36], 1.0
	v_fma_f64 v[35:36], v[35:36], v[37:38], v[35:36]
	v_fma_f64 v[37:38], -v[33:34], v[35:36], 1.0
	v_fma_f64 v[35:36], v[35:36], v[37:38], v[35:36]
	v_mul_f64 v[37:38], v[42:43], v[35:36]
	v_fma_f64 v[33:34], -v[33:34], v[37:38], v[42:43]
	v_div_fmas_f64 v[33:34], v[33:34], v[35:36], v[37:38]
	v_div_fixup_f64 v[42:43], v[33:34], v[31:32], v[6:7]
.LBB20_73:                              ;   in Loop: Header=BB20_44 Depth=2
	s_or_b64 exec, exec, s[8:9]
	v_mul_f64 v[46:47], v[29:30], 0.5
	v_add_f64 v[6:7], v[1:2], v[42:43]
	v_mov_b32_e32 v44, 0
	v_mov_b32_e32 v32, v2
	;; [unrolled: 1-line block ×5, first 2 shown]
.LBB20_74:                              ;   in Loop: Header=BB20_44 Depth=2
	s_or_b64 exec, exec, s[10:11]
	v_mov_b32_e32 v35, v24
	s_mov_b32 s10, -1
	s_mov_b64 s[8:9], 0
	v_mov_b32_e32 v34, v23
.LBB20_75:                              ;   Parent Loop BB20_4 Depth=1
                                        ;     Parent Loop BB20_44 Depth=2
                                        ; =>    This Inner Loop Header: Depth=3
	global_load_dwordx2 v[36:37], v[34:35], off
	s_add_i32 s10, s10, 1
	v_cmp_eq_u32_e32 vcc, s10, v33
	s_or_b64 s[8:9], vcc, s[8:9]
	s_waitcnt vmcnt(0)
	v_add_f64 v[36:37], v[36:37], -v[31:32]
	global_store_dwordx2 v[34:35], v[36:37], off
	v_add_co_u32_e32 v34, vcc, 8, v34
	v_addc_co_u32_e32 v35, vcc, 0, v35, vcc
	s_andn2_b64 exec, exec, s[8:9]
	s_cbranch_execnz .LBB20_75
; %bb.76:                               ;   in Loop: Header=BB20_44 Depth=2
	s_or_b64 exec, exec, s[8:9]
	v_cmp_gt_i32_e64 s[8:9], s66, v33
	s_and_saveexec_b64 s[10:11], s[8:9]
	s_cbranch_execz .LBB20_79
; %bb.77:                               ;   in Loop: Header=BB20_44 Depth=2
	s_mov_b64 s[14:15], 0
	s_mov_b32 s20, s66
.LBB20_78:                              ;   Parent Loop BB20_4 Depth=1
                                        ;     Parent Loop BB20_44 Depth=2
                                        ; =>    This Inner Loop Header: Depth=3
	s_lshl_b64 s[16:17], s[20:21], 3
	v_mov_b32_e32 v5, s17
	v_add_co_u32_e32 v34, vcc, s16, v20
	v_addc_co_u32_e32 v35, vcc, v60, v5, vcc
	global_load_dwordx2 v[36:37], v[34:35], off
	s_add_i32 s20, s20, -1
	v_cmp_le_u32_e32 vcc, s20, v33
	s_or_b64 s[14:15], vcc, s[14:15]
	s_waitcnt vmcnt(0)
	v_add_f64 v[36:37], v[36:37], -v[31:32]
	global_store_dwordx2 v[34:35], v[36:37], off
	s_andn2_b64 exec, exec, s[14:15]
	s_cbranch_execnz .LBB20_78
.LBB20_79:                              ;   in Loop: Header=BB20_44 Depth=2
	s_or_b64 exec, exec, s[10:11]
	v_mov_b32_e32 v34, v10
	v_lshlrev_b64 v[36:37], 3, v[33:34]
	v_mov_b32_e32 v52, 0
	v_add_co_u32_e32 v34, vcc, v20, v36
	v_addc_co_u32_e32 v35, vcc, v60, v37, vcc
	global_load_dwordx2 v[38:39], v[34:35], off
	v_mov_b32_e32 v54, 0
	v_mov_b32_e32 v53, 0
	;; [unrolled: 1-line block ×3, first 2 shown]
	v_cmp_ne_u32_e64 s[10:11], 0, v33
	s_waitcnt vmcnt(0)
	v_add_f64 v[48:49], v[38:39], -v[42:43]
	v_mov_b32_e32 v38, 0
	v_mov_b32_e32 v39, 0
	global_store_dwordx2 v[34:35], v[48:49], off
	s_and_saveexec_b64 s[16:17], s[10:11]
	s_cbranch_execz .LBB20_83
; %bb.80:                               ;   in Loop: Header=BB20_44 Depth=2
	v_mov_b32_e32 v38, 0
	v_mov_b32_e32 v49, v24
	;; [unrolled: 1-line block ×5, first 2 shown]
	s_mov_b64 s[84:85], 0
	s_mov_b64 s[86:87], s[42:43]
	v_mov_b32_e32 v48, v23
	v_mov_b32_e32 v53, 0
	;; [unrolled: 1-line block ×4, first 2 shown]
.LBB20_81:                              ;   Parent Loop BB20_4 Depth=1
                                        ;     Parent Loop BB20_44 Depth=2
                                        ; =>    This Inner Loop Header: Depth=3
	global_load_dwordx2 v[50:51], v[48:49], off
	v_add_u32_e32 v5, -1, v5
	s_waitcnt vmcnt(0)
	v_add_f64 v[50:51], v[50:51], -v[42:43]
	global_store_dwordx2 v[48:49], v[50:51], off
	global_load_dwordx2 v[56:57], v10, s[86:87]
	s_add_u32 s86, s86, 8
	s_addc_u32 s87, s87, 0
	s_waitcnt vmcnt(0)
	v_div_scale_f64 v[58:59], s[14:15], v[50:51], v[50:51], v[56:57]
	v_add_co_u32_e64 v48, s[14:15], 8, v48
	v_rcp_f64_e32 v[70:71], v[58:59]
	v_fma_f64 v[72:73], -v[58:59], v[70:71], 1.0
	v_fma_f64 v[70:71], v[70:71], v[72:73], v[70:71]
	v_div_scale_f64 v[72:73], vcc, v[56:57], v[50:51], v[56:57]
	v_fma_f64 v[74:75], -v[58:59], v[70:71], 1.0
	v_fma_f64 v[70:71], v[70:71], v[74:75], v[70:71]
	v_mul_f64 v[74:75], v[72:73], v[70:71]
	v_fma_f64 v[58:59], -v[58:59], v[74:75], v[72:73]
	v_div_fmas_f64 v[58:59], v[58:59], v[70:71], v[74:75]
	v_cmp_eq_u32_e32 vcc, 0, v5
	s_or_b64 s[84:85], vcc, s[84:85]
	v_addc_co_u32_e64 v49, vcc, 0, v49, s[14:15]
	v_div_fixup_f64 v[50:51], v[58:59], v[50:51], v[56:57]
	v_fma_f64 v[54:55], v[56:57], v[50:51], v[54:55]
	v_fma_f64 v[38:39], v[50:51], v[50:51], v[38:39]
	v_add_f64 v[52:53], v[52:53], v[54:55]
	s_andn2_b64 exec, exec, s[84:85]
	s_cbranch_execnz .LBB20_81
; %bb.82:                               ;   in Loop: Header=BB20_44 Depth=2
	s_or_b64 exec, exec, s[84:85]
	v_and_b32_e32 v53, 0x7fffffff, v53
.LBB20_83:                              ;   in Loop: Header=BB20_44 Depth=2
	s_or_b64 exec, exec, s[16:17]
	v_mov_b32_e32 v50, 0
	v_mov_b32_e32 v58, 0
	;; [unrolled: 1-line block ×4, first 2 shown]
	s_and_saveexec_b64 s[14:15], s[8:9]
	s_cbranch_execz .LBB20_87
; %bb.84:                               ;   in Loop: Header=BB20_44 Depth=2
	v_mov_b32_e32 v50, 0
	v_mov_b32_e32 v58, 0
	;; [unrolled: 1-line block ×3, first 2 shown]
	s_mov_b64 s[16:17], 0
	v_mov_b32_e32 v59, 0
	s_mov_b32 s20, s66
.LBB20_85:                              ;   Parent Loop BB20_4 Depth=1
                                        ;     Parent Loop BB20_44 Depth=2
                                        ; =>    This Inner Loop Header: Depth=3
	s_lshl_b64 s[58:59], s[20:21], 3
	v_mov_b32_e32 v5, s59
	v_add_co_u32_e32 v48, vcc, s58, v20
	v_addc_co_u32_e32 v49, vcc, v60, v5, vcc
	global_load_dwordx2 v[56:57], v[48:49], off
	s_add_u32 s58, s42, s58
	s_addc_u32 s59, s43, s59
	s_add_i32 s20, s20, -1
	s_waitcnt vmcnt(0)
	v_add_f64 v[56:57], v[56:57], -v[42:43]
	global_store_dwordx2 v[48:49], v[56:57], off
	global_load_dwordx2 v[48:49], v10, s[58:59]
	s_waitcnt vmcnt(0)
	v_div_scale_f64 v[70:71], s[58:59], v[56:57], v[56:57], v[48:49]
	v_rcp_f64_e32 v[72:73], v[70:71]
	v_fma_f64 v[74:75], -v[70:71], v[72:73], 1.0
	v_fma_f64 v[72:73], v[72:73], v[74:75], v[72:73]
	v_div_scale_f64 v[74:75], vcc, v[48:49], v[56:57], v[48:49]
	v_fma_f64 v[76:77], -v[70:71], v[72:73], 1.0
	v_fma_f64 v[72:73], v[72:73], v[76:77], v[72:73]
	v_mul_f64 v[76:77], v[74:75], v[72:73]
	v_fma_f64 v[70:71], -v[70:71], v[76:77], v[74:75]
	v_div_fmas_f64 v[70:71], v[70:71], v[72:73], v[76:77]
	v_cmp_le_u32_e32 vcc, s20, v33
	s_or_b64 s[16:17], vcc, s[16:17]
	v_div_fixup_f64 v[56:57], v[70:71], v[56:57], v[48:49]
	v_fma_f64 v[58:59], v[48:49], v[56:57], v[58:59]
	v_fma_f64 v[50:51], v[56:57], v[56:57], v[50:51]
	v_add_f64 v[52:53], v[52:53], v[58:59]
	s_andn2_b64 exec, exec, s[16:17]
	s_cbranch_execnz .LBB20_85
; %bb.86:                               ;   in Loop: Header=BB20_44 Depth=2
	s_or_b64 exec, exec, s[16:17]
.LBB20_87:                              ;   in Loop: Header=BB20_44 Depth=2
	s_or_b64 exec, exec, s[14:15]
	v_mov_b32_e32 v5, s43
	v_add_co_u32_e32 v36, vcc, s42, v36
	v_addc_co_u32_e32 v37, vcc, v5, v37, vcc
	global_load_dwordx2 v[48:49], v[34:35], off
	global_load_dwordx2 v[70:71], v[36:37], off
	s_waitcnt vmcnt(0)
	v_div_scale_f64 v[56:57], s[14:15], v[48:49], v[48:49], v[70:71]
	v_rcp_f64_e32 v[72:73], v[56:57]
	v_fma_f64 v[74:75], -v[56:57], v[72:73], 1.0
	v_fma_f64 v[72:73], v[72:73], v[74:75], v[72:73]
	v_div_scale_f64 v[74:75], vcc, v[70:71], v[48:49], v[70:71]
	v_fma_f64 v[76:77], -v[56:57], v[72:73], 1.0
	v_fma_f64 v[72:73], v[72:73], v[76:77], v[72:73]
	v_mul_f64 v[76:77], v[74:75], v[72:73]
	v_fma_f64 v[56:57], -v[56:57], v[76:77], v[74:75]
	v_add_f64 v[74:75], v[58:59], -v[54:55]
	v_add_f64 v[54:55], v[15:16], v[54:55]
	v_div_fmas_f64 v[56:57], v[56:57], v[72:73], v[76:77]
	v_fma_f64 v[74:75], v[74:75], s[24:25], v[17:18]
	v_add_f64 v[54:55], v[54:55], v[58:59]
	v_div_fixup_f64 v[72:73], v[56:57], v[48:49], v[70:71]
	v_add_f64 v[56:57], v[38:39], v[50:51]
	v_mul_f64 v[38:39], v[70:71], v[72:73]
	v_fma_f64 v[50:51], v[72:73], v[72:73], v[56:57]
	v_fma_f64 v[38:39], |v[38:39]|, s[48:49], v[74:75]
	v_fma_f64 v[38:39], |v[42:43]|, v[50:51], v[38:39]
	v_add_f64 v[38:39], v[52:53], v[38:39]
	v_fma_f64 v[52:53], v[70:71], v[72:73], v[54:55]
	v_mul_f64 v[38:39], s[26:27], v[38:39]
	v_cmp_nle_f64_e64 s[14:15], |v[52:53]|, v[38:39]
	s_and_saveexec_b64 s[84:85], s[14:15]
	s_cbranch_execz .LBB20_169
; %bb.88:                               ;   in Loop: Header=BB20_44 Depth=2
	global_load_dwordx4 v[5:8], v[25:26], off
                                        ; implicit-def: $vgpr58_vgpr59
	s_and_saveexec_b64 s[14:15], s[12:13]
	s_xor_b64 s[14:15], exec, s[14:15]
	s_cbranch_execz .LBB20_90
; %bb.89:                               ;   in Loop: Header=BB20_44 Depth=2
	global_load_dwordx2 v[38:39], v[27:28], off offset:8
	s_waitcnt vmcnt(0)
	v_mul_f64 v[54:55], v[29:30], v[38:39]
	v_mul_f64 v[38:39], v[38:39], v[54:55]
	v_div_scale_f64 v[54:55], s[16:17], v[7:8], v[7:8], v[38:39]
	v_rcp_f64_e32 v[58:59], v[54:55]
	v_fma_f64 v[70:71], -v[54:55], v[58:59], 1.0
	v_fma_f64 v[58:59], v[58:59], v[70:71], v[58:59]
	v_div_scale_f64 v[70:71], vcc, v[38:39], v[7:8], v[38:39]
	v_fma_f64 v[72:73], -v[54:55], v[58:59], 1.0
	v_fma_f64 v[58:59], v[58:59], v[72:73], v[58:59]
	v_mul_f64 v[72:73], v[70:71], v[58:59]
	v_fma_f64 v[54:55], -v[54:55], v[72:73], v[70:71]
	v_div_fmas_f64 v[54:55], v[54:55], v[58:59], v[72:73]
	v_div_fixup_f64 v[38:39], v[54:55], v[7:8], v[38:39]
	v_div_scale_f64 v[54:55], s[16:17], v[7:8], v[7:8], v[38:39]
	v_div_scale_f64 v[72:73], vcc, v[38:39], v[7:8], v[38:39]
	v_rcp_f64_e32 v[58:59], v[54:55]
	v_fma_f64 v[70:71], -v[54:55], v[58:59], 1.0
	v_fma_f64 v[58:59], v[58:59], v[70:71], v[58:59]
	v_fma_f64 v[70:71], -v[54:55], v[58:59], 1.0
	v_fma_f64 v[58:59], v[58:59], v[70:71], v[58:59]
	v_mul_f64 v[70:71], v[72:73], v[58:59]
	v_fma_f64 v[54:55], -v[54:55], v[70:71], v[72:73]
	v_div_fmas_f64 v[54:55], v[54:55], v[58:59], v[70:71]
	v_fma_f64 v[58:59], -v[50:51], v[5:6], v[52:53]
	v_div_fixup_f64 v[38:39], v[54:55], v[7:8], v[38:39]
	v_add_f64 v[58:59], v[58:59], -v[38:39]
.LBB20_90:                              ;   in Loop: Header=BB20_44 Depth=2
	s_or_saveexec_b64 s[14:15], s[14:15]
	v_add_f64 v[38:39], v[1:2], -v[3:4]
	s_xor_b64 exec, exec, s[14:15]
	s_cbranch_execz .LBB20_92
; %bb.91:                               ;   in Loop: Header=BB20_44 Depth=2
	global_load_dwordx2 v[1:2], v[27:28], off
	s_waitcnt vmcnt(0)
	v_mul_f64 v[3:4], v[38:39], v[1:2]
	v_mul_f64 v[1:2], v[1:2], v[3:4]
	v_div_scale_f64 v[3:4], s[16:17], v[5:6], v[5:6], v[1:2]
	v_rcp_f64_e32 v[54:55], v[3:4]
	v_fma_f64 v[58:59], -v[3:4], v[54:55], 1.0
	v_fma_f64 v[54:55], v[54:55], v[58:59], v[54:55]
	v_div_scale_f64 v[58:59], vcc, v[1:2], v[5:6], v[1:2]
	v_fma_f64 v[70:71], -v[3:4], v[54:55], 1.0
	v_fma_f64 v[54:55], v[54:55], v[70:71], v[54:55]
	v_mul_f64 v[70:71], v[58:59], v[54:55]
	v_fma_f64 v[3:4], -v[3:4], v[70:71], v[58:59]
	v_div_fmas_f64 v[3:4], v[3:4], v[54:55], v[70:71]
	v_div_fixup_f64 v[1:2], v[3:4], v[5:6], v[1:2]
	v_div_scale_f64 v[3:4], s[16:17], v[5:6], v[5:6], v[1:2]
	v_div_scale_f64 v[70:71], vcc, v[1:2], v[5:6], v[1:2]
	v_rcp_f64_e32 v[54:55], v[3:4]
	v_fma_f64 v[58:59], -v[3:4], v[54:55], 1.0
	v_fma_f64 v[54:55], v[54:55], v[58:59], v[54:55]
	v_fma_f64 v[58:59], -v[3:4], v[54:55], 1.0
	v_fma_f64 v[54:55], v[54:55], v[58:59], v[54:55]
	v_mul_f64 v[58:59], v[70:71], v[54:55]
	v_fma_f64 v[3:4], -v[3:4], v[58:59], v[70:71]
	v_div_fmas_f64 v[3:4], v[3:4], v[54:55], v[58:59]
	v_fma_f64 v[54:55], -v[50:51], v[7:8], v[52:53]
	v_div_fixup_f64 v[1:2], v[3:4], v[5:6], v[1:2]
	v_add_f64 v[58:59], v[54:55], -v[1:2]
.LBB20_92:                              ;   in Loop: Header=BB20_44 Depth=2
	s_or_b64 exec, exec, s[14:15]
	s_waitcnt vmcnt(0)
	v_mul_f64 v[1:2], v[5:6], v[7:8]
	v_add_f64 v[54:55], v[5:6], v[7:8]
	v_cmp_neq_f64_e32 vcc, 0, v[58:59]
	v_mul_f64 v[70:71], v[50:51], v[1:2]
	v_mul_f64 v[3:4], v[52:53], v[1:2]
                                        ; implicit-def: $vgpr1_vgpr2
	v_fma_f64 v[54:55], v[52:53], v[54:55], -v[70:71]
	s_and_saveexec_b64 s[14:15], vcc
	s_xor_b64 s[16:17], exec, s[14:15]
	s_cbranch_execz .LBB20_98
; %bb.93:                               ;   in Loop: Header=BB20_44 Depth=2
	v_mul_f64 v[1:2], v[3:4], -4.0
	v_cmp_ge_f64_e64 s[14:15], 0, v[54:55]
	v_mul_f64 v[1:2], v[1:2], v[58:59]
	v_fma_f64 v[1:2], v[54:55], v[54:55], v[1:2]
	v_cmp_lt_f64_e64 vcc, |v[1:2]|, s[22:23]
	v_cndmask_b32_e32 v5, 0, v68, vcc
	v_ldexp_f64 v[1:2], |v[1:2]|, v5
	v_rsq_f64_e32 v[5:6], v[1:2]
	v_mul_f64 v[7:8], v[1:2], v[5:6]
	v_mul_f64 v[5:6], v[5:6], 0.5
	v_fma_f64 v[56:57], -v[5:6], v[7:8], 0.5
	v_fma_f64 v[7:8], v[7:8], v[56:57], v[7:8]
	v_fma_f64 v[5:6], v[5:6], v[56:57], v[5:6]
	v_fma_f64 v[56:57], -v[7:8], v[7:8], v[1:2]
	v_fma_f64 v[7:8], v[56:57], v[5:6], v[7:8]
	v_fma_f64 v[56:57], -v[7:8], v[7:8], v[1:2]
	v_fma_f64 v[5:6], v[56:57], v[5:6], v[7:8]
	v_cndmask_b32_e32 v7, 0, v69, vcc
	v_cmp_class_f64_e32 vcc, v[1:2], v67
	v_ldexp_f64 v[5:6], v[5:6], v7
	v_cndmask_b32_e32 v6, v6, v2, vcc
	v_cndmask_b32_e32 v5, v5, v1, vcc
                                        ; implicit-def: $vgpr1_vgpr2
	s_and_saveexec_b64 s[58:59], s[14:15]
	s_xor_b64 s[14:15], exec, s[58:59]
	s_cbranch_execz .LBB20_95
; %bb.94:                               ;   in Loop: Header=BB20_44 Depth=2
	v_add_f64 v[1:2], v[54:55], -v[5:6]
	v_add_f64 v[3:4], v[58:59], v[58:59]
	v_div_scale_f64 v[5:6], s[58:59], v[3:4], v[3:4], v[1:2]
	v_div_scale_f64 v[56:57], vcc, v[1:2], v[3:4], v[1:2]
	v_rcp_f64_e32 v[7:8], v[5:6]
	v_fma_f64 v[54:55], -v[5:6], v[7:8], 1.0
	v_fma_f64 v[7:8], v[7:8], v[54:55], v[7:8]
	v_fma_f64 v[54:55], -v[5:6], v[7:8], 1.0
	v_fma_f64 v[7:8], v[7:8], v[54:55], v[7:8]
	v_mul_f64 v[54:55], v[56:57], v[7:8]
	v_fma_f64 v[5:6], -v[5:6], v[54:55], v[56:57]
	v_div_fmas_f64 v[5:6], v[5:6], v[7:8], v[54:55]
                                        ; implicit-def: $vgpr54_vgpr55
	v_div_fixup_f64 v[1:2], v[5:6], v[3:4], v[1:2]
                                        ; implicit-def: $vgpr3_vgpr4
                                        ; implicit-def: $vgpr5_vgpr6
.LBB20_95:                              ;   in Loop: Header=BB20_44 Depth=2
	s_andn2_saveexec_b64 s[14:15], s[14:15]
	s_cbranch_execz .LBB20_97
; %bb.96:                               ;   in Loop: Header=BB20_44 Depth=2
	v_add_f64 v[1:2], v[3:4], v[3:4]
	v_add_f64 v[3:4], v[54:55], v[5:6]
	v_div_scale_f64 v[5:6], s[58:59], v[3:4], v[3:4], v[1:2]
	v_div_scale_f64 v[56:57], vcc, v[1:2], v[3:4], v[1:2]
	v_rcp_f64_e32 v[7:8], v[5:6]
	v_fma_f64 v[54:55], -v[5:6], v[7:8], 1.0
	v_fma_f64 v[7:8], v[7:8], v[54:55], v[7:8]
	v_fma_f64 v[54:55], -v[5:6], v[7:8], 1.0
	v_fma_f64 v[7:8], v[7:8], v[54:55], v[7:8]
	v_mul_f64 v[54:55], v[56:57], v[7:8]
	v_fma_f64 v[5:6], -v[5:6], v[54:55], v[56:57]
	v_div_fmas_f64 v[5:6], v[5:6], v[7:8], v[54:55]
	v_div_fixup_f64 v[1:2], v[5:6], v[3:4], v[1:2]
.LBB20_97:                              ;   in Loop: Header=BB20_44 Depth=2
	s_or_b64 exec, exec, s[14:15]
                                        ; implicit-def: $vgpr54_vgpr55
                                        ; implicit-def: $vgpr3_vgpr4
                                        ; implicit-def: $vgpr7_vgpr8
                                        ; implicit-def: $vgpr56_vgpr57
.LBB20_98:                              ;   in Loop: Header=BB20_44 Depth=2
	s_andn2_saveexec_b64 s[14:15], s[16:17]
	s_cbranch_execz .LBB20_106
; %bb.99:                               ;   in Loop: Header=BB20_44 Depth=2
	v_cmp_eq_f64_e32 vcc, 0, v[54:55]
	s_and_saveexec_b64 s[16:17], vcc
	s_cbranch_execz .LBB20_105
; %bb.100:                              ;   in Loop: Header=BB20_44 Depth=2
                                        ; implicit-def: $vgpr54_vgpr55
	s_and_saveexec_b64 s[58:59], s[12:13]
	s_xor_b64 s[58:59], exec, s[58:59]
	s_cbranch_execz .LBB20_102
; %bb.101:                              ;   in Loop: Header=BB20_44 Depth=2
	global_load_dwordx2 v[1:2], v[27:28], off offset:8
	v_mul_f64 v[5:6], v[5:6], v[5:6]
                                        ; implicit-def: $vgpr7_vgpr8
	s_waitcnt vmcnt(0)
	v_mul_f64 v[1:2], v[1:2], v[1:2]
	v_fma_f64 v[54:55], v[56:57], v[5:6], v[1:2]
                                        ; implicit-def: $vgpr56_vgpr57
.LBB20_102:                             ;   in Loop: Header=BB20_44 Depth=2
	s_andn2_saveexec_b64 s[58:59], s[58:59]
	s_cbranch_execz .LBB20_104
; %bb.103:                              ;   in Loop: Header=BB20_44 Depth=2
	global_load_dwordx2 v[1:2], v[27:28], off
	v_mul_f64 v[5:6], v[7:8], v[7:8]
	s_waitcnt vmcnt(0)
	v_mul_f64 v[1:2], v[1:2], v[1:2]
	v_fma_f64 v[54:55], v[56:57], v[5:6], v[1:2]
.LBB20_104:                             ;   in Loop: Header=BB20_44 Depth=2
	s_or_b64 exec, exec, s[58:59]
.LBB20_105:                             ;   in Loop: Header=BB20_44 Depth=2
	s_or_b64 exec, exec, s[16:17]
	v_div_scale_f64 v[1:2], s[16:17], v[54:55], v[54:55], v[3:4]
	v_div_scale_f64 v[56:57], vcc, v[3:4], v[54:55], v[3:4]
	v_rcp_f64_e32 v[5:6], v[1:2]
	v_fma_f64 v[7:8], -v[1:2], v[5:6], 1.0
	v_fma_f64 v[5:6], v[5:6], v[7:8], v[5:6]
	v_fma_f64 v[7:8], -v[1:2], v[5:6], 1.0
	v_fma_f64 v[5:6], v[5:6], v[7:8], v[5:6]
	v_mul_f64 v[7:8], v[56:57], v[5:6]
	v_fma_f64 v[1:2], -v[1:2], v[7:8], v[56:57]
	v_div_fmas_f64 v[1:2], v[1:2], v[5:6], v[7:8]
	v_div_fixup_f64 v[1:2], v[1:2], v[54:55], v[3:4]
.LBB20_106:                             ;   in Loop: Header=BB20_44 Depth=2
	s_or_b64 exec, exec, s[14:15]
	v_mul_f64 v[3:4], v[52:53], v[1:2]
	v_cmp_le_f64_e32 vcc, 0, v[3:4]
	s_and_saveexec_b64 s[14:15], vcc
	s_cbranch_execz .LBB20_108
; %bb.107:                              ;   in Loop: Header=BB20_44 Depth=2
	v_div_scale_f64 v[1:2], s[16:17], v[50:51], v[50:51], -v[52:53]
	v_div_scale_f64 v[7:8], vcc, -v[52:53], v[50:51], -v[52:53]
	v_rcp_f64_e32 v[3:4], v[1:2]
	v_fma_f64 v[5:6], -v[1:2], v[3:4], 1.0
	v_fma_f64 v[3:4], v[3:4], v[5:6], v[3:4]
	v_fma_f64 v[5:6], -v[1:2], v[3:4], 1.0
	v_fma_f64 v[3:4], v[3:4], v[5:6], v[3:4]
	v_mul_f64 v[5:6], v[7:8], v[3:4]
	v_fma_f64 v[1:2], -v[1:2], v[5:6], v[7:8]
	v_div_fmas_f64 v[1:2], v[1:2], v[3:4], v[5:6]
	v_div_fixup_f64 v[1:2], v[1:2], v[50:51], -v[52:53]
.LBB20_108:                             ;   in Loop: Header=BB20_44 Depth=2
	s_or_b64 exec, exec, s[14:15]
	v_cmp_lt_f64_e32 vcc, v[44:45], v[42:43]
	v_cmp_lt_f64_e64 s[14:15], 0, v[52:53]
	v_cmp_lt_f64_e64 s[16:17], v[42:43], v[46:47]
	v_add_f64 v[3:4], v[42:43], v[1:2]
	v_cndmask_b32_e32 v7, v44, v42, vcc
	v_cndmask_b32_e32 v5, v45, v43, vcc
	v_cmp_nge_f64_e32 vcc, 0, v[52:53]
	s_and_b64 s[14:15], s[14:15], s[16:17]
	v_cndmask_b32_e64 v6, v47, v43, s[14:15]
	v_cndmask_b32_e32 v8, v5, v45, vcc
	v_cndmask_b32_e64 v5, v46, v42, s[14:15]
	v_cndmask_b32_e32 v7, v7, v44, vcc
	v_cmp_gt_f64_e32 vcc, v[3:4], v[5:6]
	v_cmp_lt_f64_e64 s[14:15], v[3:4], v[7:8]
	s_or_b64 s[16:17], vcc, s[14:15]
	s_and_saveexec_b64 s[14:15], s[16:17]
	s_cbranch_execz .LBB20_114
; %bb.109:                              ;   in Loop: Header=BB20_44 Depth=2
	v_cmp_ngt_f64_e32 vcc, 0, v[52:53]
                                        ; implicit-def: $vgpr1_vgpr2
	s_and_saveexec_b64 s[16:17], vcc
	s_xor_b64 s[16:17], exec, s[16:17]
	s_cbranch_execz .LBB20_111
; %bb.110:                              ;   in Loop: Header=BB20_44 Depth=2
	v_add_f64 v[1:2], v[7:8], -v[42:43]
	v_mul_f64 v[1:2], v[1:2], 0.5
.LBB20_111:                             ;   in Loop: Header=BB20_44 Depth=2
	s_andn2_saveexec_b64 s[16:17], s[16:17]
	s_cbranch_execz .LBB20_113
; %bb.112:                              ;   in Loop: Header=BB20_44 Depth=2
	v_add_f64 v[1:2], v[5:6], -v[42:43]
	v_mul_f64 v[1:2], v[1:2], 0.5
.LBB20_113:                             ;   in Loop: Header=BB20_44 Depth=2
	s_or_b64 exec, exec, s[16:17]
.LBB20_114:                             ;   in Loop: Header=BB20_44 Depth=2
	s_or_b64 exec, exec, s[14:15]
	v_add_f64 v[48:49], v[48:49], -v[1:2]
	v_mov_b32_e32 v44, 0
	v_mov_b32_e32 v3, 0
	;; [unrolled: 1-line block ×6, first 2 shown]
	global_store_dwordx2 v[34:35], v[48:49], off
	s_and_saveexec_b64 s[16:17], s[10:11]
	s_cbranch_execz .LBB20_118
; %bb.115:                              ;   in Loop: Header=BB20_44 Depth=2
	v_mov_b32_e32 v44, 0
	v_mov_b32_e32 v49, v24
	;; [unrolled: 1-line block ×5, first 2 shown]
	s_mov_b64 s[86:87], 0
	s_mov_b64 s[88:89], s[42:43]
	v_mov_b32_e32 v48, v23
	v_mov_b32_e32 v4, 0
	;; [unrolled: 1-line block ×4, first 2 shown]
.LBB20_116:                             ;   Parent Loop BB20_4 Depth=1
                                        ;     Parent Loop BB20_44 Depth=2
                                        ; =>    This Inner Loop Header: Depth=3
	global_load_dwordx2 v[54:55], v[48:49], off
	v_add_u32_e32 v50, -1, v50
	s_waitcnt vmcnt(0)
	v_add_f64 v[54:55], v[54:55], -v[1:2]
	global_store_dwordx2 v[48:49], v[54:55], off
	global_load_dwordx2 v[56:57], v10, s[88:89]
	s_add_u32 s88, s88, 8
	s_addc_u32 s89, s89, 0
	s_waitcnt vmcnt(0)
	v_div_scale_f64 v[58:59], s[14:15], v[54:55], v[54:55], v[56:57]
	v_add_co_u32_e64 v48, s[14:15], 8, v48
	v_rcp_f64_e32 v[70:71], v[58:59]
	v_fma_f64 v[72:73], -v[58:59], v[70:71], 1.0
	v_fma_f64 v[70:71], v[70:71], v[72:73], v[70:71]
	v_div_scale_f64 v[72:73], vcc, v[56:57], v[54:55], v[56:57]
	v_fma_f64 v[74:75], -v[58:59], v[70:71], 1.0
	v_fma_f64 v[70:71], v[70:71], v[74:75], v[70:71]
	v_mul_f64 v[74:75], v[72:73], v[70:71]
	v_fma_f64 v[58:59], -v[58:59], v[74:75], v[72:73]
	v_div_fmas_f64 v[58:59], v[58:59], v[70:71], v[74:75]
	v_cmp_eq_u32_e32 vcc, 0, v50
	s_or_b64 s[86:87], vcc, s[86:87]
	v_addc_co_u32_e64 v49, vcc, 0, v49, s[14:15]
	v_div_fixup_f64 v[54:55], v[58:59], v[54:55], v[56:57]
	v_fma_f64 v[46:47], v[56:57], v[54:55], v[46:47]
	v_fma_f64 v[44:45], v[54:55], v[54:55], v[44:45]
	v_add_f64 v[3:4], v[3:4], v[46:47]
	s_andn2_b64 exec, exec, s[86:87]
	s_cbranch_execnz .LBB20_116
; %bb.117:                              ;   in Loop: Header=BB20_44 Depth=2
	s_or_b64 exec, exec, s[86:87]
	v_and_b32_e32 v4, 0x7fffffff, v4
.LBB20_118:                             ;   in Loop: Header=BB20_44 Depth=2
	s_or_b64 exec, exec, s[16:17]
	v_mov_b32_e32 v50, 0
	v_mov_b32_e32 v54, 0
	;; [unrolled: 1-line block ×4, first 2 shown]
	s_and_saveexec_b64 s[14:15], s[8:9]
	s_cbranch_execz .LBB20_122
; %bb.119:                              ;   in Loop: Header=BB20_44 Depth=2
	v_mov_b32_e32 v50, 0
	v_mov_b32_e32 v54, 0
	;; [unrolled: 1-line block ×3, first 2 shown]
	s_mov_b64 s[16:17], 0
	v_mov_b32_e32 v55, 0
	s_mov_b32 s20, s66
.LBB20_120:                             ;   Parent Loop BB20_4 Depth=1
                                        ;     Parent Loop BB20_44 Depth=2
                                        ; =>    This Inner Loop Header: Depth=3
	s_lshl_b64 s[58:59], s[20:21], 3
	v_mov_b32_e32 v49, s59
	v_add_co_u32_e32 v48, vcc, s58, v20
	v_addc_co_u32_e32 v49, vcc, v60, v49, vcc
	global_load_dwordx2 v[56:57], v[48:49], off
	s_add_u32 s58, s42, s58
	s_addc_u32 s59, s43, s59
	s_add_i32 s20, s20, -1
	s_waitcnt vmcnt(0)
	v_add_f64 v[56:57], v[56:57], -v[1:2]
	global_store_dwordx2 v[48:49], v[56:57], off
	global_load_dwordx2 v[48:49], v10, s[58:59]
	s_waitcnt vmcnt(0)
	v_div_scale_f64 v[58:59], s[58:59], v[56:57], v[56:57], v[48:49]
	v_rcp_f64_e32 v[70:71], v[58:59]
	v_fma_f64 v[72:73], -v[58:59], v[70:71], 1.0
	v_fma_f64 v[70:71], v[70:71], v[72:73], v[70:71]
	v_div_scale_f64 v[72:73], vcc, v[48:49], v[56:57], v[48:49]
	v_fma_f64 v[74:75], -v[58:59], v[70:71], 1.0
	v_fma_f64 v[70:71], v[70:71], v[74:75], v[70:71]
	v_mul_f64 v[74:75], v[72:73], v[70:71]
	v_fma_f64 v[58:59], -v[58:59], v[74:75], v[72:73]
	v_div_fmas_f64 v[58:59], v[58:59], v[70:71], v[74:75]
	v_cmp_le_u32_e32 vcc, s20, v33
	s_or_b64 s[16:17], vcc, s[16:17]
	v_div_fixup_f64 v[56:57], v[58:59], v[56:57], v[48:49]
	v_fma_f64 v[54:55], v[48:49], v[56:57], v[54:55]
	v_fma_f64 v[50:51], v[56:57], v[56:57], v[50:51]
	v_add_f64 v[3:4], v[3:4], v[54:55]
	s_andn2_b64 exec, exec, s[16:17]
	s_cbranch_execnz .LBB20_120
; %bb.121:                              ;   in Loop: Header=BB20_44 Depth=2
	s_or_b64 exec, exec, s[16:17]
.LBB20_122:                             ;   in Loop: Header=BB20_44 Depth=2
	s_or_b64 exec, exec, s[14:15]
	global_load_dwordx2 v[58:59], v[36:37], off
	global_load_dwordx2 v[48:49], v[34:35], off
	v_and_b32_e32 v71, 0x7fffffff, v53
	v_mov_b32_e32 v70, v52
	v_div_scale_f64 v[72:73], s[14:15], s[50:51], s[50:51], v[70:71]
	v_add_f64 v[42:43], v[42:43], v[1:2]
	s_mov_b32 s20, 1
	s_mov_b64 s[86:87], 0
                                        ; implicit-def: $sgpr88_sgpr89
	s_waitcnt vmcnt(0)
	v_div_scale_f64 v[56:57], s[14:15], v[48:49], v[48:49], v[58:59]
	v_div_scale_f64 v[76:77], vcc, v[58:59], v[48:49], v[58:59]
	v_div_scale_f64 v[70:71], s[14:15], v[70:71], s[50:51], v[70:71]
	v_rcp_f64_e32 v[60:61], v[56:57]
	v_fma_f64 v[74:75], -v[56:57], v[60:61], 1.0
	v_fma_f64 v[60:61], v[60:61], v[74:75], v[60:61]
	v_rcp_f64_e32 v[74:75], v[72:73]
	v_fma_f64 v[78:79], -v[56:57], v[60:61], 1.0
	v_fma_f64 v[60:61], v[60:61], v[78:79], v[60:61]
	v_fma_f64 v[78:79], -v[72:73], v[74:75], 1.0
	v_mul_f64 v[80:81], v[76:77], v[60:61]
	v_fma_f64 v[74:75], v[74:75], v[78:79], v[74:75]
	v_fma_f64 v[56:57], -v[56:57], v[80:81], v[76:77]
	v_fma_f64 v[76:77], -v[72:73], v[74:75], 1.0
	v_div_fmas_f64 v[56:57], v[56:57], v[60:61], v[80:81]
	v_fma_f64 v[60:61], v[74:75], v[76:77], v[74:75]
	v_add_f64 v[76:77], v[54:55], -v[46:47]
	v_add_f64 v[46:47], v[15:16], v[46:47]
	s_mov_b64 vcc, s[14:15]
	v_readlane_b32 s14, v82, 42
	v_mul_f64 v[74:75], v[70:71], v[60:61]
	v_fma_f64 v[76:77], v[76:77], s[24:25], v[17:18]
	v_add_f64 v[46:47], v[46:47], v[54:55]
	v_div_fixup_f64 v[56:57], v[56:57], v[48:49], v[58:59]
	v_fma_f64 v[70:71], -v[72:73], v[74:75], v[70:71]
	v_add_f64 v[72:73], v[44:45], v[50:51]
	v_mul_f64 v[78:79], v[58:59], v[56:57]
	v_div_fmas_f64 v[60:61], v[70:71], v[60:61], v[74:75]
	v_fma_f64 v[54:55], v[56:57], v[56:57], v[72:73]
	v_fma_f64 v[46:47], v[58:59], v[56:57], v[46:47]
	v_add_co_u32_e32 v40, vcc, s14, v40
	v_fma_f64 v[1:2], |v[78:79]|, s[48:49], v[76:77]
	v_xor_b32_e32 v20, 0x80000000, v47
	v_mov_b32_e32 v58, v46
	v_cndmask_b32_e64 v59, v47, v20, s[4:5]
	v_fma_f64 v[1:2], |v[42:43]|, v[54:55], v[1:2]
	v_div_fixup_f64 v[52:53], v[60:61], s[50:51], |v[52:53]|
	v_add_f64 v[1:2], v[3:4], v[1:2]
	v_cmp_gt_f64_e64 s[90:91], v[58:59], v[52:53]
	v_mov_b32_e32 v3, s67
	v_addc_co_u32_e32 v41, vcc, v3, v41, vcc
	s_branch .LBB20_125
.LBB20_123:                             ;   in Loop: Header=BB20_125 Depth=3
	s_or_b64 exec, exec, s[16:17]
	global_load_dwordx2 v[58:59], v[36:37], off
	global_load_dwordx2 v[48:49], v[34:35], off
	v_and_b32_e32 v61, 0x7fffffff, v47
	v_mov_b32_e32 v60, v46
	v_div_scale_f64 v[70:71], s[14:15], s[50:51], s[50:51], v[60:61]
	v_add_f64 v[42:43], v[42:43], v[52:53]
	s_add_i32 s20, s20, 1
	v_rcp_f64_e32 v[74:75], v[70:71]
	s_waitcnt vmcnt(0)
	v_div_scale_f64 v[56:57], s[14:15], v[48:49], v[48:49], v[58:59]
	v_div_scale_f64 v[78:79], vcc, v[58:59], v[48:49], v[58:59]
	v_div_scale_f64 v[60:61], s[14:15], v[60:61], s[50:51], v[60:61]
	v_rcp_f64_e32 v[72:73], v[56:57]
	v_fma_f64 v[76:77], -v[56:57], v[72:73], 1.0
	v_fma_f64 v[72:73], v[72:73], v[76:77], v[72:73]
	v_fma_f64 v[76:77], -v[70:71], v[74:75], 1.0
	v_fma_f64 v[80:81], -v[56:57], v[72:73], 1.0
	v_fma_f64 v[74:75], v[74:75], v[76:77], v[74:75]
	v_fma_f64 v[72:73], v[72:73], v[80:81], v[72:73]
	v_fma_f64 v[76:77], -v[70:71], v[74:75], 1.0
	v_mul_f64 v[80:81], v[78:79], v[72:73]
	v_fma_f64 v[74:75], v[74:75], v[76:77], v[74:75]
	v_fma_f64 v[56:57], -v[56:57], v[80:81], v[78:79]
	v_mul_f64 v[76:77], v[60:61], v[74:75]
	v_div_fmas_f64 v[56:57], v[56:57], v[72:73], v[80:81]
	v_fma_f64 v[60:61], -v[70:71], v[76:77], v[60:61]
	v_add_f64 v[70:71], v[15:16], v[3:4]
	v_add_f64 v[3:4], v[54:55], -v[3:4]
	s_mov_b64 vcc, s[14:15]
	v_div_fmas_f64 v[60:61], v[60:61], v[74:75], v[76:77]
	v_add_f64 v[54:55], v[70:71], v[54:55]
	v_add_f64 v[70:71], v[44:45], v[50:51]
	v_fma_f64 v[3:4], v[3:4], s[24:25], v[17:18]
	v_div_fixup_f64 v[56:57], v[56:57], v[48:49], v[58:59]
	v_mul_f64 v[72:73], v[58:59], v[56:57]
	v_fma_f64 v[58:59], v[58:59], v[56:57], v[54:55]
	v_fma_f64 v[54:55], v[56:57], v[56:57], v[70:71]
	v_div_fixup_f64 v[52:53], v[60:61], s[50:51], |v[46:47]|
	v_fma_f64 v[3:4], |v[72:73]|, s[48:49], v[3:4]
	v_mul_f64 v[46:47], v[46:47], v[58:59]
	v_cmp_gt_f64_e64 s[14:15], |v[58:59]|, v[52:53]
	v_fma_f64 v[3:4], |v[42:43]|, v[54:55], v[3:4]
	v_cmp_lt_f64_e32 vcc, 0, v[46:47]
	v_mov_b32_e32 v46, v58
	v_mov_b32_e32 v47, v59
	v_add_f64 v[1:2], v[1:2], v[3:4]
	s_and_b64 s[14:15], vcc, s[14:15]
	s_xor_b64 s[14:15], s[90:91], s[14:15]
	s_cmp_eq_u32 s20, 50
	s_cselect_b64 s[16:17], -1, 0
	s_andn2_b64 s[58:59], s[88:89], exec
	s_and_b64 s[16:17], s[16:17], exec
	s_or_b64 s[88:89], s[58:59], s[16:17]
                                        ; implicit-def: $sgpr90_sgpr91
.LBB20_124:                             ;   in Loop: Header=BB20_125 Depth=3
	s_or_b64 exec, exec, s[92:93]
	s_and_b64 s[16:17], exec, s[88:89]
	s_or_b64 s[86:87], s[16:17], s[86:87]
	s_andn2_b64 s[16:17], s[90:91], exec
	s_and_b64 s[14:15], s[14:15], exec
	s_or_b64 s[90:91], s[16:17], s[14:15]
	s_andn2_b64 exec, exec, s[86:87]
	s_cbranch_execz .LBB20_168
.LBB20_125:                             ;   Parent Loop BB20_4 Depth=1
                                        ;     Parent Loop BB20_44 Depth=2
                                        ; =>    This Loop Header: Depth=3
                                        ;         Child Loop BB20_162 Depth 4
                                        ;         Child Loop BB20_166 Depth 4
	v_mul_f64 v[1:2], s[26:27], v[1:2]
	s_or_b64 s[88:89], s[88:89], exec
                                        ; implicit-def: $sgpr14_sgpr15
	v_cmp_nle_f64_e64 s[16:17], |v[46:47]|, v[1:2]
                                        ; implicit-def: $vgpr1_vgpr2
	s_and_saveexec_b64 s[92:93], s[16:17]
	s_cbranch_execz .LBB20_124
; %bb.126:                              ;   in Loop: Header=BB20_125 Depth=3
	global_load_dwordx4 v[1:4], v[25:26], off
	s_xor_b64 s[16:17], s[90:91], -1
                                        ; implicit-def: $vgpr60_vgpr61
	s_and_saveexec_b64 s[14:15], s[16:17]
	s_xor_b64 s[14:15], exec, s[14:15]
	s_cbranch_execz .LBB20_128
; %bb.127:                              ;   in Loop: Header=BB20_125 Depth=3
	v_fma_f64 v[52:53], v[56:57], v[56:57], v[44:45]
	v_fma_f64 v[56:57], v[56:57], v[56:57], v[50:51]
	v_cndmask_b32_e64 v45, v45, v53, s[4:5]
	v_cndmask_b32_e64 v44, v44, v52, s[4:5]
	s_waitcnt vmcnt(0)
	v_fma_f64 v[52:53], -v[44:45], v[1:2], v[46:47]
	v_cndmask_b32_e64 v51, v57, v51, s[4:5]
	v_cndmask_b32_e64 v50, v56, v50, s[4:5]
	v_fma_f64 v[60:61], -v[50:51], v[3:4], v[52:53]
.LBB20_128:                             ;   in Loop: Header=BB20_125 Depth=3
	s_andn2_saveexec_b64 s[14:15], s[14:15]
	s_cbranch_execz .LBB20_134
; %bb.129:                              ;   in Loop: Header=BB20_125 Depth=3
                                        ; implicit-def: $vgpr60_vgpr61
	s_and_saveexec_b64 s[58:59], s[12:13]
	s_xor_b64 s[58:59], exec, s[58:59]
	s_cbranch_execz .LBB20_131
; %bb.130:                              ;   in Loop: Header=BB20_125 Depth=3
	global_load_dwordx2 v[52:53], v[27:28], off offset:8
	s_waitcnt vmcnt(0)
	v_mul_f64 v[56:57], v[29:30], v[52:53]
	v_mul_f64 v[52:53], v[52:53], v[56:57]
	v_div_scale_f64 v[56:57], s[94:95], v[3:4], v[3:4], v[52:53]
	v_rcp_f64_e32 v[58:59], v[56:57]
	v_fma_f64 v[60:61], -v[56:57], v[58:59], 1.0
	v_fma_f64 v[58:59], v[58:59], v[60:61], v[58:59]
	v_div_scale_f64 v[60:61], vcc, v[52:53], v[3:4], v[52:53]
	v_fma_f64 v[70:71], -v[56:57], v[58:59], 1.0
	v_fma_f64 v[58:59], v[58:59], v[70:71], v[58:59]
	v_mul_f64 v[70:71], v[60:61], v[58:59]
	v_fma_f64 v[56:57], -v[56:57], v[70:71], v[60:61]
	v_div_fmas_f64 v[56:57], v[56:57], v[58:59], v[70:71]
	v_div_fixup_f64 v[52:53], v[56:57], v[3:4], v[52:53]
	v_div_scale_f64 v[56:57], s[94:95], v[3:4], v[3:4], v[52:53]
	v_div_scale_f64 v[70:71], vcc, v[52:53], v[3:4], v[52:53]
	v_rcp_f64_e32 v[58:59], v[56:57]
	v_fma_f64 v[60:61], -v[56:57], v[58:59], 1.0
	v_fma_f64 v[58:59], v[58:59], v[60:61], v[58:59]
	v_fma_f64 v[60:61], -v[56:57], v[58:59], 1.0
	v_fma_f64 v[58:59], v[58:59], v[60:61], v[58:59]
	v_mul_f64 v[60:61], v[70:71], v[58:59]
	v_fma_f64 v[56:57], -v[56:57], v[60:61], v[70:71]
	v_div_fmas_f64 v[56:57], v[56:57], v[58:59], v[60:61]
	v_fma_f64 v[58:59], -v[54:55], v[1:2], v[46:47]
	v_div_fixup_f64 v[52:53], v[56:57], v[3:4], v[52:53]
	v_add_f64 v[60:61], v[58:59], -v[52:53]
.LBB20_131:                             ;   in Loop: Header=BB20_125 Depth=3
	s_andn2_saveexec_b64 s[58:59], s[58:59]
	s_cbranch_execz .LBB20_133
; %bb.132:                              ;   in Loop: Header=BB20_125 Depth=3
	global_load_dwordx2 v[52:53], v[27:28], off
	s_waitcnt vmcnt(0)
	v_mul_f64 v[56:57], v[38:39], v[52:53]
	v_mul_f64 v[52:53], v[52:53], v[56:57]
	v_div_scale_f64 v[56:57], s[94:95], v[1:2], v[1:2], v[52:53]
	v_rcp_f64_e32 v[58:59], v[56:57]
	v_fma_f64 v[60:61], -v[56:57], v[58:59], 1.0
	v_fma_f64 v[58:59], v[58:59], v[60:61], v[58:59]
	v_div_scale_f64 v[60:61], vcc, v[52:53], v[1:2], v[52:53]
	v_fma_f64 v[70:71], -v[56:57], v[58:59], 1.0
	v_fma_f64 v[58:59], v[58:59], v[70:71], v[58:59]
	v_mul_f64 v[70:71], v[60:61], v[58:59]
	v_fma_f64 v[56:57], -v[56:57], v[70:71], v[60:61]
	v_div_fmas_f64 v[56:57], v[56:57], v[58:59], v[70:71]
	v_div_fixup_f64 v[52:53], v[56:57], v[1:2], v[52:53]
	v_div_scale_f64 v[56:57], s[94:95], v[1:2], v[1:2], v[52:53]
	v_div_scale_f64 v[70:71], vcc, v[52:53], v[1:2], v[52:53]
	v_rcp_f64_e32 v[58:59], v[56:57]
	v_fma_f64 v[60:61], -v[56:57], v[58:59], 1.0
	v_fma_f64 v[58:59], v[58:59], v[60:61], v[58:59]
	v_fma_f64 v[60:61], -v[56:57], v[58:59], 1.0
	v_fma_f64 v[58:59], v[58:59], v[60:61], v[58:59]
	v_mul_f64 v[60:61], v[70:71], v[58:59]
	v_fma_f64 v[56:57], -v[56:57], v[60:61], v[70:71]
	v_div_fmas_f64 v[56:57], v[56:57], v[58:59], v[60:61]
	v_fma_f64 v[58:59], -v[54:55], v[3:4], v[46:47]
	v_div_fixup_f64 v[52:53], v[56:57], v[1:2], v[52:53]
	v_add_f64 v[60:61], v[58:59], -v[52:53]
.LBB20_133:                             ;   in Loop: Header=BB20_125 Depth=3
	s_or_b64 exec, exec, s[58:59]
.LBB20_134:                             ;   in Loop: Header=BB20_125 Depth=3
	s_or_b64 exec, exec, s[14:15]
	s_waitcnt vmcnt(0)
	v_mul_f64 v[52:53], v[1:2], v[3:4]
	v_add_f64 v[58:59], v[1:2], v[3:4]
	v_cmp_neq_f64_e32 vcc, 0, v[60:61]
	v_mul_f64 v[70:71], v[54:55], v[52:53]
	v_mul_f64 v[56:57], v[46:47], v[52:53]
                                        ; implicit-def: $vgpr52_vgpr53
	v_fma_f64 v[58:59], v[46:47], v[58:59], -v[70:71]
	s_and_saveexec_b64 s[14:15], vcc
	s_xor_b64 s[94:95], exec, s[14:15]
	s_cbranch_execz .LBB20_140
; %bb.135:                              ;   in Loop: Header=BB20_125 Depth=3
	v_mul_f64 v[1:2], v[56:57], -4.0
	v_cmp_ge_f64_e64 s[14:15], 0, v[58:59]
                                        ; implicit-def: $vgpr52_vgpr53
	v_mul_f64 v[1:2], v[1:2], v[60:61]
	v_fma_f64 v[1:2], v[58:59], v[58:59], v[1:2]
	v_cmp_lt_f64_e64 vcc, |v[1:2]|, s[22:23]
	v_cndmask_b32_e32 v3, 0, v68, vcc
	v_ldexp_f64 v[1:2], |v[1:2]|, v3
	v_cndmask_b32_e32 v20, 0, v69, vcc
	v_rsq_f64_e32 v[3:4], v[1:2]
	v_cmp_class_f64_e32 vcc, v[1:2], v67
	v_mul_f64 v[44:45], v[1:2], v[3:4]
	v_mul_f64 v[3:4], v[3:4], 0.5
	v_fma_f64 v[50:51], -v[3:4], v[44:45], 0.5
	v_fma_f64 v[44:45], v[44:45], v[50:51], v[44:45]
	v_fma_f64 v[3:4], v[3:4], v[50:51], v[3:4]
	v_fma_f64 v[50:51], -v[44:45], v[44:45], v[1:2]
	v_fma_f64 v[44:45], v[50:51], v[3:4], v[44:45]
	v_fma_f64 v[50:51], -v[44:45], v[44:45], v[1:2]
	v_fma_f64 v[3:4], v[50:51], v[3:4], v[44:45]
	v_ldexp_f64 v[3:4], v[3:4], v20
	v_cndmask_b32_e32 v2, v4, v2, vcc
	v_cndmask_b32_e32 v1, v3, v1, vcc
	s_and_saveexec_b64 s[58:59], s[14:15]
	s_xor_b64 s[14:15], exec, s[58:59]
	s_cbranch_execz .LBB20_137
; %bb.136:                              ;   in Loop: Header=BB20_125 Depth=3
	v_add_f64 v[1:2], v[58:59], -v[1:2]
	v_add_f64 v[3:4], v[60:61], v[60:61]
                                        ; implicit-def: $vgpr58_vgpr59
	v_div_scale_f64 v[44:45], s[58:59], v[3:4], v[3:4], v[1:2]
	v_div_scale_f64 v[56:57], vcc, v[1:2], v[3:4], v[1:2]
	v_rcp_f64_e32 v[50:51], v[44:45]
	v_fma_f64 v[52:53], -v[44:45], v[50:51], 1.0
	v_fma_f64 v[50:51], v[50:51], v[52:53], v[50:51]
	v_fma_f64 v[52:53], -v[44:45], v[50:51], 1.0
	v_fma_f64 v[50:51], v[50:51], v[52:53], v[50:51]
	v_mul_f64 v[52:53], v[56:57], v[50:51]
	v_fma_f64 v[44:45], -v[44:45], v[52:53], v[56:57]
                                        ; implicit-def: $vgpr56_vgpr57
	v_div_fmas_f64 v[44:45], v[44:45], v[50:51], v[52:53]
	v_div_fixup_f64 v[52:53], v[44:45], v[3:4], v[1:2]
                                        ; implicit-def: $vgpr1_vgpr2
.LBB20_137:                             ;   in Loop: Header=BB20_125 Depth=3
	s_andn2_saveexec_b64 s[14:15], s[14:15]
	s_cbranch_execz .LBB20_139
; %bb.138:                              ;   in Loop: Header=BB20_125 Depth=3
	v_add_f64 v[3:4], v[56:57], v[56:57]
	v_add_f64 v[1:2], v[58:59], v[1:2]
	v_div_scale_f64 v[44:45], s[58:59], v[1:2], v[1:2], v[3:4]
	v_div_scale_f64 v[56:57], vcc, v[3:4], v[1:2], v[3:4]
	v_rcp_f64_e32 v[50:51], v[44:45]
	v_fma_f64 v[52:53], -v[44:45], v[50:51], 1.0
	v_fma_f64 v[50:51], v[50:51], v[52:53], v[50:51]
	v_fma_f64 v[52:53], -v[44:45], v[50:51], 1.0
	v_fma_f64 v[50:51], v[50:51], v[52:53], v[50:51]
	v_mul_f64 v[52:53], v[56:57], v[50:51]
	v_fma_f64 v[44:45], -v[44:45], v[52:53], v[56:57]
	v_div_fmas_f64 v[44:45], v[44:45], v[50:51], v[52:53]
	v_div_fixup_f64 v[52:53], v[44:45], v[1:2], v[3:4]
.LBB20_139:                             ;   in Loop: Header=BB20_125 Depth=3
	s_or_b64 exec, exec, s[14:15]
                                        ; implicit-def: $vgpr58_vgpr59
                                        ; implicit-def: $vgpr56_vgpr57
                                        ; implicit-def: $vgpr1_vgpr2
                                        ; implicit-def: $vgpr50_vgpr51
                                        ; implicit-def: $vgpr44_vgpr45
.LBB20_140:                             ;   in Loop: Header=BB20_125 Depth=3
	s_andn2_saveexec_b64 s[14:15], s[94:95]
	s_cbranch_execz .LBB20_152
; %bb.141:                              ;   in Loop: Header=BB20_125 Depth=3
	v_cmp_eq_f64_e32 vcc, 0, v[58:59]
	s_and_saveexec_b64 s[94:95], vcc
	s_cbranch_execz .LBB20_151
; %bb.142:                              ;   in Loop: Header=BB20_125 Depth=3
                                        ; implicit-def: $vgpr58_vgpr59
	s_and_saveexec_b64 s[58:59], s[16:17]
	s_xor_b64 s[16:17], exec, s[58:59]
	s_cbranch_execz .LBB20_144
; %bb.143:                              ;   in Loop: Header=BB20_125 Depth=3
	v_mul_f64 v[3:4], v[3:4], v[3:4]
	v_mul_f64 v[1:2], v[1:2], v[1:2]
	;; [unrolled: 1-line block ×3, first 2 shown]
                                        ; implicit-def: $vgpr50_vgpr51
	v_fma_f64 v[58:59], v[1:2], v[44:45], v[3:4]
                                        ; implicit-def: $vgpr3_vgpr4
                                        ; implicit-def: $vgpr44_vgpr45
.LBB20_144:                             ;   in Loop: Header=BB20_125 Depth=3
	s_andn2_saveexec_b64 s[16:17], s[16:17]
	s_cbranch_execz .LBB20_150
; %bb.145:                              ;   in Loop: Header=BB20_125 Depth=3
	v_add_f64 v[44:45], v[44:45], v[50:51]
                                        ; implicit-def: $vgpr58_vgpr59
	s_and_saveexec_b64 s[58:59], s[12:13]
	s_xor_b64 s[58:59], exec, s[58:59]
	s_cbranch_execz .LBB20_147
; %bb.146:                              ;   in Loop: Header=BB20_125 Depth=3
	global_load_dwordx2 v[3:4], v[27:28], off offset:8
	v_mul_f64 v[1:2], v[1:2], v[1:2]
	s_waitcnt vmcnt(0)
	v_mul_f64 v[3:4], v[3:4], v[3:4]
	v_fma_f64 v[58:59], v[1:2], v[44:45], v[3:4]
                                        ; implicit-def: $vgpr3_vgpr4
                                        ; implicit-def: $vgpr44_vgpr45
.LBB20_147:                             ;   in Loop: Header=BB20_125 Depth=3
	s_andn2_saveexec_b64 s[58:59], s[58:59]
	s_cbranch_execz .LBB20_149
; %bb.148:                              ;   in Loop: Header=BB20_125 Depth=3
	global_load_dwordx2 v[1:2], v[27:28], off
	v_mul_f64 v[3:4], v[3:4], v[3:4]
	s_waitcnt vmcnt(0)
	v_mul_f64 v[1:2], v[1:2], v[1:2]
	v_fma_f64 v[58:59], v[3:4], v[44:45], v[1:2]
.LBB20_149:                             ;   in Loop: Header=BB20_125 Depth=3
	s_or_b64 exec, exec, s[58:59]
.LBB20_150:                             ;   in Loop: Header=BB20_125 Depth=3
	s_or_b64 exec, exec, s[16:17]
.LBB20_151:                             ;   in Loop: Header=BB20_125 Depth=3
	s_or_b64 exec, exec, s[94:95]
	v_div_scale_f64 v[1:2], s[16:17], v[58:59], v[58:59], v[56:57]
	v_div_scale_f64 v[50:51], vcc, v[56:57], v[58:59], v[56:57]
	v_rcp_f64_e32 v[3:4], v[1:2]
	v_fma_f64 v[44:45], -v[1:2], v[3:4], 1.0
	v_fma_f64 v[3:4], v[3:4], v[44:45], v[3:4]
	v_fma_f64 v[44:45], -v[1:2], v[3:4], 1.0
	v_fma_f64 v[3:4], v[3:4], v[44:45], v[3:4]
	v_mul_f64 v[44:45], v[50:51], v[3:4]
	v_fma_f64 v[1:2], -v[1:2], v[44:45], v[50:51]
	v_div_fmas_f64 v[1:2], v[1:2], v[3:4], v[44:45]
	v_div_fixup_f64 v[52:53], v[1:2], v[58:59], v[56:57]
.LBB20_152:                             ;   in Loop: Header=BB20_125 Depth=3
	s_or_b64 exec, exec, s[14:15]
	v_mul_f64 v[1:2], v[46:47], v[52:53]
	v_cmp_le_f64_e32 vcc, 0, v[1:2]
	s_and_saveexec_b64 s[14:15], vcc
	s_cbranch_execz .LBB20_154
; %bb.153:                              ;   in Loop: Header=BB20_125 Depth=3
	v_div_scale_f64 v[1:2], s[16:17], v[54:55], v[54:55], -v[46:47]
	v_div_scale_f64 v[50:51], vcc, -v[46:47], v[54:55], -v[46:47]
	v_rcp_f64_e32 v[3:4], v[1:2]
	v_fma_f64 v[44:45], -v[1:2], v[3:4], 1.0
	v_fma_f64 v[3:4], v[3:4], v[44:45], v[3:4]
	v_fma_f64 v[44:45], -v[1:2], v[3:4], 1.0
	v_fma_f64 v[3:4], v[3:4], v[44:45], v[3:4]
	v_mul_f64 v[44:45], v[50:51], v[3:4]
	v_fma_f64 v[1:2], -v[1:2], v[44:45], v[50:51]
	v_div_fmas_f64 v[1:2], v[1:2], v[3:4], v[44:45]
	v_div_fixup_f64 v[52:53], v[1:2], v[54:55], -v[46:47]
.LBB20_154:                             ;   in Loop: Header=BB20_125 Depth=3
	s_or_b64 exec, exec, s[14:15]
	v_cmp_lt_f64_e32 vcc, v[7:8], v[42:43]
	v_cmp_lt_f64_e64 s[14:15], 0, v[46:47]
	v_cmp_lt_f64_e64 s[16:17], v[42:43], v[5:6]
	v_add_f64 v[1:2], v[42:43], v[52:53]
	v_cndmask_b32_e32 v3, v7, v42, vcc
	v_cndmask_b32_e32 v4, v8, v43, vcc
	v_cmp_nge_f64_e32 vcc, 0, v[46:47]
	s_and_b64 s[14:15], s[14:15], s[16:17]
	v_cndmask_b32_e64 v6, v6, v43, s[14:15]
	v_cndmask_b32_e64 v5, v5, v42, s[14:15]
	v_cndmask_b32_e32 v8, v4, v8, vcc
	v_cndmask_b32_e32 v7, v3, v7, vcc
	v_cmp_gt_f64_e32 vcc, v[1:2], v[5:6]
	v_cmp_lt_f64_e64 s[14:15], v[1:2], v[7:8]
	s_or_b64 s[16:17], vcc, s[14:15]
	s_and_saveexec_b64 s[14:15], s[16:17]
	s_cbranch_execz .LBB20_160
; %bb.155:                              ;   in Loop: Header=BB20_125 Depth=3
	v_cmp_ngt_f64_e32 vcc, 0, v[46:47]
                                        ; implicit-def: $vgpr52_vgpr53
	s_and_saveexec_b64 s[16:17], vcc
	s_xor_b64 s[16:17], exec, s[16:17]
	s_cbranch_execz .LBB20_157
; %bb.156:                              ;   in Loop: Header=BB20_125 Depth=3
	v_add_f64 v[1:2], v[7:8], -v[42:43]
	v_mul_f64 v[52:53], v[1:2], 0.5
.LBB20_157:                             ;   in Loop: Header=BB20_125 Depth=3
	s_andn2_saveexec_b64 s[16:17], s[16:17]
	s_cbranch_execz .LBB20_159
; %bb.158:                              ;   in Loop: Header=BB20_125 Depth=3
	v_add_f64 v[1:2], v[5:6], -v[42:43]
	v_mul_f64 v[52:53], v[1:2], 0.5
.LBB20_159:                             ;   in Loop: Header=BB20_125 Depth=3
	s_or_b64 exec, exec, s[16:17]
.LBB20_160:                             ;   in Loop: Header=BB20_125 Depth=3
	s_or_b64 exec, exec, s[14:15]
	v_add_f64 v[48:49], v[48:49], -v[52:53]
	v_mov_b32_e32 v44, 0
	v_mov_b32_e32 v1, 0
	;; [unrolled: 1-line block ×6, first 2 shown]
	global_store_dwordx2 v[34:35], v[48:49], off
	s_and_saveexec_b64 s[16:17], s[10:11]
	s_cbranch_execz .LBB20_164
; %bb.161:                              ;   in Loop: Header=BB20_125 Depth=3
	v_mov_b32_e32 v44, 0
	v_mov_b32_e32 v49, v24
	;; [unrolled: 1-line block ×5, first 2 shown]
	s_mov_b64 s[94:95], 0
	s_mov_b64 s[58:59], s[42:43]
	v_mov_b32_e32 v48, v23
	v_mov_b32_e32 v2, 0
	;; [unrolled: 1-line block ×4, first 2 shown]
.LBB20_162:                             ;   Parent Loop BB20_4 Depth=1
                                        ;     Parent Loop BB20_44 Depth=2
                                        ;       Parent Loop BB20_125 Depth=3
                                        ; =>      This Inner Loop Header: Depth=4
	global_load_dwordx2 v[50:51], v[48:49], off
	v_add_u32_e32 v20, -1, v20
	s_waitcnt vmcnt(0)
	v_add_f64 v[50:51], v[50:51], -v[52:53]
	global_store_dwordx2 v[48:49], v[50:51], off
	global_load_dwordx2 v[54:55], v10, s[58:59]
	s_add_u32 s58, s58, 8
	s_addc_u32 s59, s59, 0
	s_waitcnt vmcnt(0)
	v_div_scale_f64 v[56:57], s[14:15], v[50:51], v[50:51], v[54:55]
	v_add_co_u32_e64 v48, s[14:15], 8, v48
	v_rcp_f64_e32 v[58:59], v[56:57]
	v_fma_f64 v[60:61], -v[56:57], v[58:59], 1.0
	v_fma_f64 v[58:59], v[58:59], v[60:61], v[58:59]
	v_div_scale_f64 v[60:61], vcc, v[54:55], v[50:51], v[54:55]
	v_fma_f64 v[70:71], -v[56:57], v[58:59], 1.0
	v_fma_f64 v[58:59], v[58:59], v[70:71], v[58:59]
	v_mul_f64 v[70:71], v[60:61], v[58:59]
	v_fma_f64 v[56:57], -v[56:57], v[70:71], v[60:61]
	v_div_fmas_f64 v[56:57], v[56:57], v[58:59], v[70:71]
	v_cmp_eq_u32_e32 vcc, 0, v20
	s_or_b64 s[94:95], vcc, s[94:95]
	v_addc_co_u32_e64 v49, vcc, 0, v49, s[14:15]
	v_div_fixup_f64 v[50:51], v[56:57], v[50:51], v[54:55]
	v_fma_f64 v[3:4], v[54:55], v[50:51], v[3:4]
	v_fma_f64 v[44:45], v[50:51], v[50:51], v[44:45]
	v_add_f64 v[1:2], v[1:2], v[3:4]
	s_andn2_b64 exec, exec, s[94:95]
	s_cbranch_execnz .LBB20_162
; %bb.163:                              ;   in Loop: Header=BB20_125 Depth=3
	s_or_b64 exec, exec, s[94:95]
	v_and_b32_e32 v2, 0x7fffffff, v2
.LBB20_164:                             ;   in Loop: Header=BB20_125 Depth=3
	s_or_b64 exec, exec, s[16:17]
	v_mov_b32_e32 v50, 0
	v_mov_b32_e32 v54, 0
	;; [unrolled: 1-line block ×4, first 2 shown]
	s_and_saveexec_b64 s[16:17], s[8:9]
	s_cbranch_execz .LBB20_123
; %bb.165:                              ;   in Loop: Header=BB20_125 Depth=3
	v_mov_b32_e32 v50, 0
	v_mov_b32_e32 v49, v41
	;; [unrolled: 1-line block ×4, first 2 shown]
	s_mov_b64 s[94:95], 0
	s_mov_b64 s[58:59], s[76:77]
	v_mov_b32_e32 v48, v40
	v_mov_b32_e32 v55, 0
	s_mov_b32 s37, s66
.LBB20_166:                             ;   Parent Loop BB20_4 Depth=1
                                        ;     Parent Loop BB20_44 Depth=2
                                        ;       Parent Loop BB20_125 Depth=3
                                        ; =>      This Inner Loop Header: Depth=4
	global_load_dwordx2 v[56:57], v[48:49], off
	s_add_i32 s37, s37, -1
	s_waitcnt vmcnt(0)
	v_add_f64 v[56:57], v[56:57], -v[52:53]
	global_store_dwordx2 v[48:49], v[56:57], off
	global_load_dwordx2 v[58:59], v10, s[58:59]
	s_add_u32 s58, s58, -8
	s_addc_u32 s59, s59, -1
	s_waitcnt vmcnt(0)
	v_div_scale_f64 v[60:61], s[14:15], v[56:57], v[56:57], v[58:59]
	v_add_co_u32_e64 v48, s[14:15], -8, v48
	v_rcp_f64_e32 v[70:71], v[60:61]
	v_fma_f64 v[72:73], -v[60:61], v[70:71], 1.0
	v_fma_f64 v[70:71], v[70:71], v[72:73], v[70:71]
	v_div_scale_f64 v[72:73], vcc, v[58:59], v[56:57], v[58:59]
	v_fma_f64 v[74:75], -v[60:61], v[70:71], 1.0
	v_fma_f64 v[70:71], v[70:71], v[74:75], v[70:71]
	v_mul_f64 v[74:75], v[72:73], v[70:71]
	v_fma_f64 v[60:61], -v[60:61], v[74:75], v[72:73]
	v_div_fmas_f64 v[60:61], v[60:61], v[70:71], v[74:75]
	v_cmp_le_i32_e32 vcc, s37, v33
	s_or_b64 s[94:95], vcc, s[94:95]
	v_addc_co_u32_e64 v49, vcc, -1, v49, s[14:15]
	v_div_fixup_f64 v[56:57], v[60:61], v[56:57], v[58:59]
	v_fma_f64 v[54:55], v[58:59], v[56:57], v[54:55]
	v_fma_f64 v[50:51], v[56:57], v[56:57], v[50:51]
	v_add_f64 v[1:2], v[1:2], v[54:55]
	s_andn2_b64 exec, exec, s[94:95]
	s_cbranch_execnz .LBB20_166
; %bb.167:                              ;   in Loop: Header=BB20_125 Depth=3
	s_or_b64 exec, exec, s[94:95]
	s_branch .LBB20_123
.LBB20_168:                             ;   in Loop: Header=BB20_44 Depth=2
	s_or_b64 exec, exec, s[86:87]
	v_add_f64 v[6:7], v[31:32], v[42:43]
.LBB20_169:                             ;   in Loop: Header=BB20_44 Depth=2
	s_or_b64 exec, exec, s[84:85]
                                        ; implicit-def: $vgpr23_vgpr24
                                        ; implicit-def: $vgpr20
                                        ; implicit-def: $vgpr60
	s_andn2_saveexec_b64 s[14:15], s[82:83]
	s_cbranch_execz .LBB20_53
.LBB20_170:                             ;   in Loop: Header=BB20_44 Depth=2
	v_mov_b32_e32 v1, s71
	v_add_co_u32_e32 v5, vcc, s70, v20
	v_addc_co_u32_e32 v6, vcc, v60, v1, vcc
	global_load_dwordx4 v[1:4], v[5:6], off offset:-16
	v_mov_b32_e32 v25, 0
	v_mov_b32_e32 v26, 0
	s_andn2_b64 vcc, exec, s[68:69]
	s_waitcnt vmcnt(0)
	v_add_f64 v[27:28], v[13:14], v[3:4]
	s_cbranch_vccnz .LBB20_173
; %bb.171:                              ;   in Loop: Header=BB20_44 Depth=2
	v_mov_b32_e32 v25, 0
	v_mov_b32_e32 v7, v23
	;; [unrolled: 1-line block ×3, first 2 shown]
	s_mov_b64 s[4:5], s[42:43]
	v_mov_b32_e32 v8, v24
	s_mov_b32 s8, s30
.LBB20_172:                             ;   Parent Loop BB20_4 Depth=1
                                        ;     Parent Loop BB20_44 Depth=2
                                        ; =>    This Inner Loop Header: Depth=3
	global_load_dwordx2 v[29:30], v[7:8], off
	global_load_dwordx2 v[31:32], v10, s[4:5]
	s_add_i32 s8, s8, -1
	s_add_u32 s4, s4, 8
	s_addc_u32 s5, s5, 0
	s_cmp_lg_u32 s8, 0
	s_waitcnt vmcnt(1)
	v_add_f64 v[29:30], v[29:30], -v[27:28]
	s_waitcnt vmcnt(0)
	v_div_scale_f64 v[33:34], s[10:11], v[29:30], v[29:30], v[31:32]
	v_rcp_f64_e32 v[35:36], v[33:34]
	v_fma_f64 v[37:38], -v[33:34], v[35:36], 1.0
	v_fma_f64 v[35:36], v[35:36], v[37:38], v[35:36]
	v_div_scale_f64 v[37:38], vcc, v[31:32], v[29:30], v[31:32]
	v_fma_f64 v[39:40], -v[33:34], v[35:36], 1.0
	v_fma_f64 v[35:36], v[35:36], v[39:40], v[35:36]
	v_mul_f64 v[39:40], v[37:38], v[35:36]
	v_fma_f64 v[33:34], -v[33:34], v[39:40], v[37:38]
	v_div_fmas_f64 v[33:34], v[33:34], v[35:36], v[39:40]
	v_add_co_u32_e32 v7, vcc, 8, v7
	v_addc_co_u32_e32 v8, vcc, 0, v8, vcc
	v_div_fixup_f64 v[29:30], v[33:34], v[29:30], v[31:32]
	v_fma_f64 v[25:26], v[31:32], v[29:30], v[25:26]
	s_cbranch_scc1 .LBB20_172
.LBB20_173:                             ;   in Loop: Header=BB20_44 Depth=2
	global_load_dwordx4 v[31:34], v10, s[72:73] offset:-16
	v_add_f64 v[27:28], v[1:2], -v[27:28]
	v_add_f64 v[25:26], v[15:16], v[25:26]
	v_mov_b32_e32 v8, v4
	v_mov_b32_e32 v7, v3
	s_waitcnt vmcnt(0)
	v_mul_f64 v[31:32], v[31:32], v[31:32]
	v_mul_f64 v[33:34], v[33:34], v[33:34]
	v_div_scale_f64 v[29:30], s[4:5], v[27:28], v[27:28], v[31:32]
	v_rcp_f64_e32 v[35:36], v[29:30]
	v_fma_f64 v[37:38], -v[29:30], v[35:36], 1.0
	v_fma_f64 v[35:36], v[35:36], v[37:38], v[35:36]
	v_div_scale_f64 v[37:38], vcc, v[31:32], v[27:28], v[31:32]
	v_fma_f64 v[39:40], -v[29:30], v[35:36], 1.0
	v_fma_f64 v[35:36], v[35:36], v[39:40], v[35:36]
	v_mul_f64 v[39:40], v[37:38], v[35:36]
	v_fma_f64 v[29:30], -v[29:30], v[39:40], v[37:38]
	v_add_f64 v[37:38], v[33:34], v[33:34]
	v_div_fmas_f64 v[35:36], v[29:30], v[35:36], v[39:40]
	v_add_f64 v[29:30], v[25:26], 0
	v_div_fixup_f64 v[27:28], v[35:36], v[27:28], v[31:32]
	v_mul_f64 v[35:36], v[15:16], v[37:38]
	v_add_f64 v[27:28], v[29:30], v[27:28]
	v_cmp_ngt_f64_e32 vcc, v[27:28], v[35:36]
	v_add_f64 v[35:36], v[3:4], -v[1:2]
                                        ; implicit-def: $vgpr1_vgpr2
	s_and_saveexec_b64 s[4:5], vcc
	s_xor_b64 s[8:9], exec, s[4:5]
	s_cbranch_execz .LBB20_181
; %bb.174:                              ;   in Loop: Header=BB20_44 Depth=2
	v_add_f64 v[1:2], v[11:12], v[35:36]
	v_div_scale_f64 v[37:38], s[4:5], v[11:12], v[11:12], v[33:34]
	v_div_scale_f64 v[27:28], s[4:5], v[1:2], v[1:2], v[31:32]
	;; [unrolled: 1-line block ×3, first 2 shown]
	v_rcp_f64_e32 v[41:42], v[37:38]
	v_rcp_f64_e32 v[39:40], v[27:28]
	v_fma_f64 v[45:46], -v[37:38], v[41:42], 1.0
	v_fma_f64 v[43:44], -v[27:28], v[39:40], 1.0
	v_fma_f64 v[41:42], v[41:42], v[45:46], v[41:42]
	v_fma_f64 v[39:40], v[39:40], v[43:44], v[39:40]
	v_div_scale_f64 v[43:44], vcc, v[31:32], v[1:2], v[31:32]
	v_fma_f64 v[49:50], -v[37:38], v[41:42], 1.0
	v_fma_f64 v[45:46], -v[27:28], v[39:40], 1.0
	v_fma_f64 v[41:42], v[41:42], v[49:50], v[41:42]
	v_fma_f64 v[39:40], v[39:40], v[45:46], v[39:40]
	v_mul_f64 v[49:50], v[47:48], v[41:42]
	v_mul_f64 v[45:46], v[43:44], v[39:40]
	v_fma_f64 v[37:38], -v[37:38], v[49:50], v[47:48]
	v_fma_f64 v[27:28], -v[27:28], v[45:46], v[43:44]
	v_div_fmas_f64 v[27:28], v[27:28], v[39:40], v[45:46]
	s_mov_b64 vcc, s[4:5]
	v_div_fmas_f64 v[37:38], v[37:38], v[41:42], v[49:50]
	v_div_fixup_f64 v[1:2], v[27:28], v[1:2], v[31:32]
	v_div_fixup_f64 v[27:28], v[37:38], v[11:12], v[33:34]
	v_add_f64 v[1:2], v[1:2], v[27:28]
	v_cmp_nle_f64_e32 vcc, v[25:26], v[1:2]
	v_mov_b32_e32 v1, v11
	v_mov_b32_e32 v2, v12
	s_and_saveexec_b64 s[10:11], vcc
	s_cbranch_execz .LBB20_180
; %bb.175:                              ;   in Loop: Header=BB20_44 Depth=2
	v_mul_f64 v[25:26], v[35:36], v[33:34]
	v_fma_f64 v[1:2], -v[35:36], v[29:30], v[31:32]
	v_mul_f64 v[31:32], v[25:26], 4.0
	v_add_f64 v[27:28], v[33:34], v[1:2]
	v_mul_f64 v[1:2], v[29:30], v[31:32]
	v_cmp_ngt_f64_e64 s[4:5], 0, v[27:28]
	v_fma_f64 v[1:2], v[27:28], v[27:28], v[1:2]
	v_cmp_gt_f64_e32 vcc, s[22:23], v[1:2]
	v_cndmask_b32_e32 v20, 0, v68, vcc
	v_ldexp_f64 v[1:2], v[1:2], v20
	v_cndmask_b32_e32 v20, 0, v69, vcc
	v_rsq_f64_e32 v[31:32], v[1:2]
	v_cmp_class_f64_e32 vcc, v[1:2], v67
	v_mul_f64 v[33:34], v[1:2], v[31:32]
	v_mul_f64 v[31:32], v[31:32], 0.5
	v_fma_f64 v[35:36], -v[31:32], v[33:34], 0.5
	v_fma_f64 v[33:34], v[33:34], v[35:36], v[33:34]
	v_fma_f64 v[31:32], v[31:32], v[35:36], v[31:32]
	v_fma_f64 v[35:36], -v[33:34], v[33:34], v[1:2]
	v_fma_f64 v[33:34], v[35:36], v[31:32], v[33:34]
	v_fma_f64 v[35:36], -v[33:34], v[33:34], v[1:2]
	v_fma_f64 v[31:32], v[35:36], v[31:32], v[33:34]
	v_ldexp_f64 v[31:32], v[31:32], v20
	v_cndmask_b32_e32 v32, v32, v2, vcc
	v_cndmask_b32_e32 v31, v31, v1, vcc
                                        ; implicit-def: $vgpr1_vgpr2
	s_and_saveexec_b64 s[12:13], s[4:5]
	s_xor_b64 s[4:5], exec, s[12:13]
	s_cbranch_execz .LBB20_177
; %bb.176:                              ;   in Loop: Header=BB20_44 Depth=2
	v_add_f64 v[1:2], v[27:28], v[31:32]
	v_add_f64 v[25:26], v[29:30], v[29:30]
	v_div_scale_f64 v[27:28], s[12:13], v[25:26], v[25:26], v[1:2]
	v_div_scale_f64 v[33:34], vcc, v[1:2], v[25:26], v[1:2]
	v_rcp_f64_e32 v[29:30], v[27:28]
	v_fma_f64 v[31:32], -v[27:28], v[29:30], 1.0
	v_fma_f64 v[29:30], v[29:30], v[31:32], v[29:30]
	v_fma_f64 v[31:32], -v[27:28], v[29:30], 1.0
	v_fma_f64 v[29:30], v[29:30], v[31:32], v[29:30]
	v_mul_f64 v[31:32], v[33:34], v[29:30]
	v_fma_f64 v[27:28], -v[27:28], v[31:32], v[33:34]
	v_div_fmas_f64 v[27:28], v[27:28], v[29:30], v[31:32]
                                        ; implicit-def: $vgpr31_vgpr32
	v_div_fixup_f64 v[1:2], v[27:28], v[25:26], v[1:2]
                                        ; implicit-def: $vgpr25_vgpr26
                                        ; implicit-def: $vgpr27_vgpr28
.LBB20_177:                             ;   in Loop: Header=BB20_44 Depth=2
	s_andn2_saveexec_b64 s[4:5], s[4:5]
	s_cbranch_execz .LBB20_179
; %bb.178:                              ;   in Loop: Header=BB20_44 Depth=2
	v_add_f64 v[1:2], v[25:26], v[25:26]
	v_add_f64 v[25:26], v[31:32], -v[27:28]
	v_div_scale_f64 v[27:28], s[12:13], v[25:26], v[25:26], v[1:2]
	v_div_scale_f64 v[33:34], vcc, v[1:2], v[25:26], v[1:2]
	v_rcp_f64_e32 v[29:30], v[27:28]
	v_fma_f64 v[31:32], -v[27:28], v[29:30], 1.0
	v_fma_f64 v[29:30], v[29:30], v[31:32], v[29:30]
	v_fma_f64 v[31:32], -v[27:28], v[29:30], 1.0
	v_fma_f64 v[29:30], v[29:30], v[31:32], v[29:30]
	v_mul_f64 v[31:32], v[33:34], v[29:30]
	v_fma_f64 v[27:28], -v[27:28], v[31:32], v[33:34]
	v_div_fmas_f64 v[27:28], v[27:28], v[29:30], v[31:32]
	v_div_fixup_f64 v[1:2], v[27:28], v[25:26], v[1:2]
.LBB20_179:                             ;   in Loop: Header=BB20_44 Depth=2
	s_or_b64 exec, exec, s[4:5]
.LBB20_180:                             ;   in Loop: Header=BB20_44 Depth=2
	s_or_b64 exec, exec, s[10:11]
                                        ; implicit-def: $vgpr35_vgpr36
                                        ; implicit-def: $vgpr29_vgpr30
                                        ; implicit-def: $vgpr31_vgpr32
                                        ; implicit-def: $vgpr33_vgpr34
.LBB20_181:                             ;   in Loop: Header=BB20_44 Depth=2
	s_or_saveexec_b64 s[8:9], s[8:9]
	v_mov_b32_e32 v26, v14
	v_mov_b32_e32 v28, v12
	;; [unrolled: 1-line block ×4, first 2 shown]
	s_xor_b64 exec, exec, s[8:9]
	s_cbranch_execz .LBB20_187
; %bb.182:                              ;   in Loop: Header=BB20_44 Depth=2
	v_mul_f64 v[25:26], v[35:36], v[33:34]
	v_fma_f64 v[1:2], -v[35:36], v[29:30], v[31:32]
	v_mul_f64 v[31:32], v[25:26], 4.0
	v_add_f64 v[27:28], v[33:34], v[1:2]
	v_mul_f64 v[1:2], v[29:30], v[31:32]
	v_cmp_ngt_f64_e64 s[4:5], 0, v[27:28]
	v_fma_f64 v[1:2], v[27:28], v[27:28], v[1:2]
	v_cmp_gt_f64_e32 vcc, s[22:23], v[1:2]
	v_cndmask_b32_e32 v20, 0, v68, vcc
	v_ldexp_f64 v[1:2], v[1:2], v20
	v_cndmask_b32_e32 v20, 0, v69, vcc
	v_rsq_f64_e32 v[31:32], v[1:2]
	v_cmp_class_f64_e32 vcc, v[1:2], v67
	v_mul_f64 v[33:34], v[1:2], v[31:32]
	v_mul_f64 v[31:32], v[31:32], 0.5
	v_fma_f64 v[35:36], -v[31:32], v[33:34], 0.5
	v_fma_f64 v[33:34], v[33:34], v[35:36], v[33:34]
	v_fma_f64 v[31:32], v[31:32], v[35:36], v[31:32]
	v_fma_f64 v[35:36], -v[33:34], v[33:34], v[1:2]
	v_fma_f64 v[33:34], v[35:36], v[31:32], v[33:34]
	v_fma_f64 v[35:36], -v[33:34], v[33:34], v[1:2]
	v_fma_f64 v[31:32], v[35:36], v[31:32], v[33:34]
	v_ldexp_f64 v[31:32], v[31:32], v20
	v_cndmask_b32_e32 v32, v32, v2, vcc
	v_cndmask_b32_e32 v31, v31, v1, vcc
                                        ; implicit-def: $vgpr1_vgpr2
	s_and_saveexec_b64 s[10:11], s[4:5]
	s_xor_b64 s[4:5], exec, s[10:11]
	s_cbranch_execz .LBB20_184
; %bb.183:                              ;   in Loop: Header=BB20_44 Depth=2
	v_add_f64 v[1:2], v[27:28], v[31:32]
	v_add_f64 v[25:26], v[29:30], v[29:30]
	v_div_scale_f64 v[27:28], s[10:11], v[25:26], v[25:26], v[1:2]
	v_div_scale_f64 v[33:34], vcc, v[1:2], v[25:26], v[1:2]
	v_rcp_f64_e32 v[29:30], v[27:28]
	v_fma_f64 v[31:32], -v[27:28], v[29:30], 1.0
	v_fma_f64 v[29:30], v[29:30], v[31:32], v[29:30]
	v_fma_f64 v[31:32], -v[27:28], v[29:30], 1.0
	v_fma_f64 v[29:30], v[29:30], v[31:32], v[29:30]
	v_mul_f64 v[31:32], v[33:34], v[29:30]
	v_fma_f64 v[27:28], -v[27:28], v[31:32], v[33:34]
	v_div_fmas_f64 v[27:28], v[27:28], v[29:30], v[31:32]
                                        ; implicit-def: $vgpr31_vgpr32
	v_div_fixup_f64 v[1:2], v[27:28], v[25:26], v[1:2]
                                        ; implicit-def: $vgpr25_vgpr26
                                        ; implicit-def: $vgpr27_vgpr28
.LBB20_184:                             ;   in Loop: Header=BB20_44 Depth=2
	s_andn2_saveexec_b64 s[4:5], s[4:5]
	s_cbranch_execz .LBB20_186
; %bb.185:                              ;   in Loop: Header=BB20_44 Depth=2
	v_add_f64 v[1:2], v[25:26], v[25:26]
	v_add_f64 v[25:26], v[31:32], -v[27:28]
	v_div_scale_f64 v[27:28], s[10:11], v[25:26], v[25:26], v[1:2]
	v_div_scale_f64 v[33:34], vcc, v[1:2], v[25:26], v[1:2]
	v_rcp_f64_e32 v[29:30], v[27:28]
	v_fma_f64 v[31:32], -v[27:28], v[29:30], 1.0
	v_fma_f64 v[29:30], v[29:30], v[31:32], v[29:30]
	v_fma_f64 v[31:32], -v[27:28], v[29:30], 1.0
	v_fma_f64 v[29:30], v[29:30], v[31:32], v[29:30]
	v_mul_f64 v[31:32], v[33:34], v[29:30]
	v_fma_f64 v[27:28], -v[27:28], v[31:32], v[33:34]
	v_div_fmas_f64 v[27:28], v[27:28], v[29:30], v[31:32]
	v_div_fixup_f64 v[1:2], v[27:28], v[25:26], v[1:2]
.LBB20_186:                             ;   in Loop: Header=BB20_44 Depth=2
	s_or_b64 exec, exec, s[4:5]
	v_mov_b32_e32 v25, 0
	v_mov_b32_e32 v28, v14
	;; [unrolled: 1-line block ×4, first 2 shown]
.LBB20_187:                             ;   in Loop: Header=BB20_44 Depth=2
	s_or_b64 exec, exec, s[8:9]
	v_cndmask_b32_e64 v20, 0, 1, s[74:75]
	v_mov_b32_e32 v30, v24
	v_cmp_ne_u32_e64 s[4:5], 1, v20
	s_andn2_b64 vcc, exec, s[74:75]
	v_mov_b32_e32 v29, v23
	s_mov_b32 s8, s66
	s_cbranch_vccnz .LBB20_190
.LBB20_188:                             ;   Parent Loop BB20_4 Depth=1
                                        ;     Parent Loop BB20_44 Depth=2
                                        ; =>    This Inner Loop Header: Depth=3
	global_load_dwordx2 v[7:8], v[29:30], off
	s_add_i32 s8, s8, -1
	s_cmp_eq_u32 s8, 0
	s_waitcnt vmcnt(0)
	v_add_f64 v[7:8], v[7:8], -v[3:4]
	global_store_dwordx2 v[29:30], v[7:8], off
	v_add_co_u32_e32 v29, vcc, 8, v29
	v_addc_co_u32_e32 v30, vcc, 0, v30, vcc
	s_cbranch_scc0 .LBB20_188
; %bb.189:                              ;   in Loop: Header=BB20_44 Depth=2
	global_load_dwordx2 v[7:8], v[5:6], off offset:-8
.LBB20_190:                             ;   in Loop: Header=BB20_44 Depth=2
	s_waitcnt vmcnt(0)
	v_add_f64 v[31:32], v[7:8], -v[3:4]
	v_mov_b32_e32 v7, 0
	v_mov_b32_e32 v29, 0
	;; [unrolled: 1-line block ×4, first 2 shown]
	s_and_b64 vcc, exec, s[4:5]
	v_mov_b32_e32 v30, 0
	v_mov_b32_e32 v34, 0
	global_store_dwordx2 v[5:6], v[31:32], off offset:-8
	s_cbranch_vccnz .LBB20_194
; %bb.191:                              ;   in Loop: Header=BB20_44 Depth=2
	v_mov_b32_e32 v7, 0
	v_mov_b32_e32 v32, v24
	;; [unrolled: 1-line block ×5, first 2 shown]
	s_mov_b64 s[8:9], s[42:43]
	v_mov_b32_e32 v31, v23
	v_mov_b32_e32 v30, 0
	;; [unrolled: 1-line block ×3, first 2 shown]
	s_mov_b32 s10, s66
.LBB20_192:                             ;   Parent Loop BB20_4 Depth=1
                                        ;     Parent Loop BB20_44 Depth=2
                                        ; =>    This Inner Loop Header: Depth=3
	global_load_dwordx2 v[35:36], v[31:32], off
	s_add_i32 s10, s10, -1
	s_waitcnt vmcnt(0)
	v_add_f64 v[35:36], v[35:36], -v[1:2]
	global_store_dwordx2 v[31:32], v[35:36], off
	global_load_dwordx2 v[37:38], v10, s[8:9]
	s_add_u32 s8, s8, 8
	s_addc_u32 s9, s9, 0
	s_cmp_eq_u32 s10, 0
	s_waitcnt vmcnt(0)
	v_div_scale_f64 v[39:40], s[12:13], v[35:36], v[35:36], v[37:38]
	v_rcp_f64_e32 v[41:42], v[39:40]
	v_fma_f64 v[43:44], -v[39:40], v[41:42], 1.0
	v_fma_f64 v[41:42], v[41:42], v[43:44], v[41:42]
	v_div_scale_f64 v[43:44], vcc, v[37:38], v[35:36], v[37:38]
	v_fma_f64 v[45:46], -v[39:40], v[41:42], 1.0
	v_fma_f64 v[41:42], v[41:42], v[45:46], v[41:42]
	v_mul_f64 v[45:46], v[43:44], v[41:42]
	v_fma_f64 v[39:40], -v[39:40], v[45:46], v[43:44]
	v_div_fmas_f64 v[39:40], v[39:40], v[41:42], v[45:46]
	v_add_co_u32_e32 v31, vcc, 8, v31
	v_addc_co_u32_e32 v32, vcc, 0, v32, vcc
	v_div_fixup_f64 v[35:36], v[39:40], v[35:36], v[37:38]
	v_fma_f64 v[33:34], v[37:38], v[35:36], v[33:34]
	v_fma_f64 v[7:8], v[35:36], v[35:36], v[7:8]
	v_add_f64 v[29:30], v[29:30], v[33:34]
	s_cbranch_scc0 .LBB20_192
; %bb.193:                              ;   in Loop: Header=BB20_44 Depth=2
	global_load_dwordx2 v[31:32], v[5:6], off offset:-8
	v_and_b32_e32 v30, 0x7fffffff, v30
.LBB20_194:                             ;   in Loop: Header=BB20_44 Depth=2
	s_waitcnt vmcnt(0)
	v_add_f64 v[31:32], v[31:32], -v[1:2]
	global_store_dwordx2 v[5:6], v[31:32], off offset:-8
	global_load_dwordx2 v[35:36], v10, s[72:73] offset:-8
	s_waitcnt vmcnt(0)
	v_div_scale_f64 v[37:38], s[8:9], v[31:32], v[31:32], v[35:36]
	v_div_scale_f64 v[43:44], vcc, v[35:36], v[31:32], v[35:36]
	v_rcp_f64_e32 v[39:40], v[37:38]
	v_fma_f64 v[41:42], -v[37:38], v[39:40], 1.0
	v_fma_f64 v[39:40], v[39:40], v[41:42], v[39:40]
	v_fma_f64 v[41:42], -v[37:38], v[39:40], 1.0
	v_fma_f64 v[39:40], v[39:40], v[41:42], v[39:40]
	v_mul_f64 v[41:42], v[43:44], v[39:40]
	v_fma_f64 v[37:38], -v[37:38], v[41:42], v[43:44]
	v_div_fmas_f64 v[37:38], v[37:38], v[39:40], v[41:42]
	v_div_fixup_f64 v[37:38], v[37:38], v[31:32], v[35:36]
	v_fma_f64 v[39:40], v[35:36], v[37:38], 0
	v_fma_f64 v[35:36], v[37:38], v[37:38], v[7:8]
	v_add_f64 v[41:42], v[33:34], v[39:40]
	v_add_f64 v[29:30], v[29:30], v[39:40]
	;; [unrolled: 1-line block ×3, first 2 shown]
	v_ldexp_f64 v[41:42], -v[41:42], 3
	v_fma_f64 v[41:42], |v[1:2]|, v[35:36], v[41:42]
	v_add_f64 v[41:42], v[41:42], -v[39:40]
	v_add_f64 v[41:42], v[15:16], v[41:42]
	v_add_f64 v[41:42], v[29:30], v[41:42]
	;; [unrolled: 1-line block ×3, first 2 shown]
	v_mul_f64 v[33:34], s[26:27], v[41:42]
	v_cmp_nle_f64_e64 s[8:9], |v[29:30]|, v[33:34]
	s_and_saveexec_b64 s[16:17], s[8:9]
	s_cbranch_execz .LBB20_236
; %bb.195:                              ;   in Loop: Header=BB20_44 Depth=2
	global_load_dwordx2 v[39:40], v[5:6], off offset:-16
	v_mul_f64 v[33:34], v[37:38], v[37:38]
	v_cmp_lt_f64_e64 s[10:11], 0, v[29:30]
	v_cmp_lt_f64_e64 s[8:9], v[1:2], v[27:28]
	s_waitcnt vmcnt(0)
	v_fma_f64 v[7:8], -v[7:8], v[39:40], v[29:30]
	v_fma_f64 v[7:8], -v[31:32], v[33:34], v[7:8]
                                        ; implicit-def: $vgpr33_vgpr34
	v_cmp_neq_f64_e32 vcc, 0, v[7:8]
	s_and_saveexec_b64 s[12:13], vcc
	s_xor_b64 s[82:83], exec, s[12:13]
	s_cbranch_execz .LBB20_201
; %bb.196:                              ;   in Loop: Header=BB20_44 Depth=2
	v_mul_f64 v[33:34], v[31:32], v[39:40]
	v_add_f64 v[39:40], v[31:32], v[39:40]
	v_mul_f64 v[37:38], v[29:30], v[33:34]
	v_mul_f64 v[33:34], v[35:36], v[33:34]
	v_mul_f64 v[41:42], v[37:38], -4.0
	v_fma_f64 v[39:40], v[29:30], v[39:40], -v[33:34]
	v_mul_f64 v[33:34], v[41:42], |v[7:8]|
	v_cmp_le_f64_e64 s[12:13], 0, v[39:40]
	v_fma_f64 v[33:34], v[39:40], v[39:40], v[33:34]
	v_cmp_lt_f64_e64 vcc, |v[33:34]|, s[22:23]
	v_cndmask_b32_e32 v20, 0, v68, vcc
	v_ldexp_f64 v[33:34], |v[33:34]|, v20
	v_cndmask_b32_e32 v20, 0, v69, vcc
	v_rsq_f64_e32 v[41:42], v[33:34]
	v_cmp_class_f64_e32 vcc, v[33:34], v67
	v_mul_f64 v[43:44], v[33:34], v[41:42]
	v_mul_f64 v[41:42], v[41:42], 0.5
	v_fma_f64 v[45:46], -v[41:42], v[43:44], 0.5
	v_fma_f64 v[43:44], v[43:44], v[45:46], v[43:44]
	v_fma_f64 v[41:42], v[41:42], v[45:46], v[41:42]
	v_fma_f64 v[45:46], -v[43:44], v[43:44], v[33:34]
	v_fma_f64 v[43:44], v[45:46], v[41:42], v[43:44]
	v_fma_f64 v[45:46], -v[43:44], v[43:44], v[33:34]
	v_fma_f64 v[41:42], v[45:46], v[41:42], v[43:44]
	v_ldexp_f64 v[41:42], v[41:42], v20
	v_cndmask_b32_e32 v42, v42, v34, vcc
	v_cndmask_b32_e32 v41, v41, v33, vcc
                                        ; implicit-def: $vgpr33_vgpr34
	s_and_saveexec_b64 s[58:59], s[12:13]
	s_xor_b64 s[12:13], exec, s[58:59]
	s_cbranch_execz .LBB20_198
; %bb.197:                              ;   in Loop: Header=BB20_44 Depth=2
	v_add_f64 v[33:34], v[39:40], v[41:42]
	v_add_f64 v[7:8], |v[7:8]|, |v[7:8]|
	v_div_scale_f64 v[37:38], s[58:59], v[7:8], v[7:8], v[33:34]
	v_div_scale_f64 v[43:44], vcc, v[33:34], v[7:8], v[33:34]
	v_rcp_f64_e32 v[39:40], v[37:38]
	v_fma_f64 v[41:42], -v[37:38], v[39:40], 1.0
	v_fma_f64 v[39:40], v[39:40], v[41:42], v[39:40]
	v_fma_f64 v[41:42], -v[37:38], v[39:40], 1.0
	v_fma_f64 v[39:40], v[39:40], v[41:42], v[39:40]
	v_mul_f64 v[41:42], v[43:44], v[39:40]
	v_fma_f64 v[37:38], -v[37:38], v[41:42], v[43:44]
	v_div_fmas_f64 v[37:38], v[37:38], v[39:40], v[41:42]
                                        ; implicit-def: $vgpr39_vgpr40
                                        ; implicit-def: $vgpr41_vgpr42
	v_div_fixup_f64 v[33:34], v[37:38], v[7:8], v[33:34]
                                        ; implicit-def: $vgpr37_vgpr38
.LBB20_198:                             ;   in Loop: Header=BB20_44 Depth=2
	s_andn2_saveexec_b64 s[12:13], s[12:13]
	s_cbranch_execz .LBB20_200
; %bb.199:                              ;   in Loop: Header=BB20_44 Depth=2
	v_add_f64 v[7:8], v[37:38], v[37:38]
	v_add_f64 v[33:34], v[39:40], -v[41:42]
	v_div_scale_f64 v[37:38], s[58:59], v[33:34], v[33:34], v[7:8]
	v_div_scale_f64 v[43:44], vcc, v[7:8], v[33:34], v[7:8]
	v_rcp_f64_e32 v[39:40], v[37:38]
	v_fma_f64 v[41:42], -v[37:38], v[39:40], 1.0
	v_fma_f64 v[39:40], v[39:40], v[41:42], v[39:40]
	v_fma_f64 v[41:42], -v[37:38], v[39:40], 1.0
	v_fma_f64 v[39:40], v[39:40], v[41:42], v[39:40]
	v_mul_f64 v[41:42], v[43:44], v[39:40]
	v_fma_f64 v[37:38], -v[37:38], v[41:42], v[43:44]
	v_div_fmas_f64 v[37:38], v[37:38], v[39:40], v[41:42]
	v_div_fixup_f64 v[33:34], v[37:38], v[33:34], v[7:8]
.LBB20_200:                             ;   in Loop: Header=BB20_44 Depth=2
	s_or_b64 exec, exec, s[12:13]
.LBB20_201:                             ;   in Loop: Header=BB20_44 Depth=2
	s_or_saveexec_b64 s[12:13], s[82:83]
	s_and_b64 vcc, s[8:9], s[10:11]
	v_cndmask_b32_e32 v8, v28, v2, vcc
	v_cndmask_b32_e32 v7, v27, v1, vcc
	s_xor_b64 exec, exec, s[12:13]
; %bb.202:                              ;   in Loop: Header=BB20_44 Depth=2
	v_add_f64 v[33:34], v[7:8], -v[1:2]
; %bb.203:                              ;   in Loop: Header=BB20_44 Depth=2
	s_or_b64 exec, exec, s[12:13]
	v_mul_f64 v[27:28], v[29:30], v[33:34]
	v_cmp_lt_f64_e32 vcc, 0, v[27:28]
	s_and_saveexec_b64 s[8:9], vcc
	s_cbranch_execz .LBB20_205
; %bb.204:                              ;   in Loop: Header=BB20_44 Depth=2
	v_div_scale_f64 v[27:28], s[10:11], v[35:36], v[35:36], -v[29:30]
	v_div_scale_f64 v[39:40], vcc, -v[29:30], v[35:36], -v[29:30]
	v_rcp_f64_e32 v[33:34], v[27:28]
	v_fma_f64 v[37:38], -v[27:28], v[33:34], 1.0
	v_fma_f64 v[33:34], v[33:34], v[37:38], v[33:34]
	v_fma_f64 v[37:38], -v[27:28], v[33:34], 1.0
	v_fma_f64 v[33:34], v[33:34], v[37:38], v[33:34]
	v_mul_f64 v[37:38], v[39:40], v[33:34]
	v_fma_f64 v[27:28], -v[27:28], v[37:38], v[39:40]
	v_div_fmas_f64 v[27:28], v[27:28], v[33:34], v[37:38]
	v_div_fixup_f64 v[33:34], v[27:28], v[35:36], -v[29:30]
.LBB20_205:                             ;   in Loop: Header=BB20_44 Depth=2
	s_or_b64 exec, exec, s[8:9]
	v_cmp_lt_f64_e32 vcc, v[25:26], v[1:2]
	v_add_f64 v[27:28], v[1:2], v[33:34]
	v_cndmask_b32_e32 v20, v25, v1, vcc
	v_cndmask_b32_e32 v35, v26, v2, vcc
	v_cmp_nge_f64_e32 vcc, 0, v[29:30]
	v_cndmask_b32_e32 v26, v35, v26, vcc
	v_cndmask_b32_e32 v25, v20, v25, vcc
	v_cmp_gt_f64_e32 vcc, v[27:28], v[7:8]
	v_cmp_lt_f64_e64 s[8:9], v[27:28], v[25:26]
	s_or_b64 s[10:11], vcc, s[8:9]
	s_and_saveexec_b64 s[8:9], s[10:11]
	s_cbranch_execz .LBB20_211
; %bb.206:                              ;   in Loop: Header=BB20_44 Depth=2
	v_cmp_ngt_f64_e32 vcc, 0, v[29:30]
                                        ; implicit-def: $vgpr33_vgpr34
	s_and_saveexec_b64 s[10:11], vcc
	s_xor_b64 s[10:11], exec, s[10:11]
	s_cbranch_execz .LBB20_208
; %bb.207:                              ;   in Loop: Header=BB20_44 Depth=2
	v_add_f64 v[27:28], v[25:26], -v[1:2]
	v_mul_f64 v[33:34], v[27:28], 0.5
.LBB20_208:                             ;   in Loop: Header=BB20_44 Depth=2
	s_andn2_saveexec_b64 s[10:11], s[10:11]
	s_cbranch_execz .LBB20_210
; %bb.209:                              ;   in Loop: Header=BB20_44 Depth=2
	v_add_f64 v[27:28], v[7:8], -v[1:2]
	v_mul_f64 v[33:34], v[27:28], 0.5
.LBB20_210:                             ;   in Loop: Header=BB20_44 Depth=2
	s_or_b64 exec, exec, s[10:11]
.LBB20_211:                             ;   in Loop: Header=BB20_44 Depth=2
	s_or_b64 exec, exec, s[8:9]
	v_mov_b32_e32 v29, 0
	v_mov_b32_e32 v35, 0
	;; [unrolled: 1-line block ×4, first 2 shown]
	s_and_b64 vcc, exec, s[4:5]
	v_mov_b32_e32 v36, 0
	v_mov_b32_e32 v38, 0
	s_cbranch_vccnz .LBB20_215
; %bb.212:                              ;   in Loop: Header=BB20_44 Depth=2
	v_mov_b32_e32 v29, 0
	v_mov_b32_e32 v28, v24
	;; [unrolled: 1-line block ×5, first 2 shown]
	s_mov_b64 s[8:9], s[42:43]
	v_mov_b32_e32 v27, v23
	v_mov_b32_e32 v36, 0
	;; [unrolled: 1-line block ×3, first 2 shown]
	s_mov_b32 s10, s66
.LBB20_213:                             ;   Parent Loop BB20_4 Depth=1
                                        ;     Parent Loop BB20_44 Depth=2
                                        ; =>    This Inner Loop Header: Depth=3
	global_load_dwordx2 v[31:32], v[27:28], off
	s_add_i32 s10, s10, -1
	s_waitcnt vmcnt(0)
	v_add_f64 v[31:32], v[31:32], -v[33:34]
	global_store_dwordx2 v[27:28], v[31:32], off
	global_load_dwordx2 v[39:40], v10, s[8:9]
	s_add_u32 s8, s8, 8
	s_addc_u32 s9, s9, 0
	s_cmp_eq_u32 s10, 0
	s_waitcnt vmcnt(0)
	v_div_scale_f64 v[41:42], s[12:13], v[31:32], v[31:32], v[39:40]
	v_rcp_f64_e32 v[43:44], v[41:42]
	v_fma_f64 v[45:46], -v[41:42], v[43:44], 1.0
	v_fma_f64 v[43:44], v[43:44], v[45:46], v[43:44]
	v_div_scale_f64 v[45:46], vcc, v[39:40], v[31:32], v[39:40]
	v_fma_f64 v[47:48], -v[41:42], v[43:44], 1.0
	v_fma_f64 v[43:44], v[43:44], v[47:48], v[43:44]
	v_mul_f64 v[47:48], v[45:46], v[43:44]
	v_fma_f64 v[41:42], -v[41:42], v[47:48], v[45:46]
	v_div_fmas_f64 v[41:42], v[41:42], v[43:44], v[47:48]
	v_add_co_u32_e32 v27, vcc, 8, v27
	v_addc_co_u32_e32 v28, vcc, 0, v28, vcc
	v_div_fixup_f64 v[31:32], v[41:42], v[31:32], v[39:40]
	v_fma_f64 v[37:38], v[39:40], v[31:32], v[37:38]
	v_fma_f64 v[29:30], v[31:32], v[31:32], v[29:30]
	v_add_f64 v[35:36], v[35:36], v[37:38]
	s_cbranch_scc0 .LBB20_213
; %bb.214:                              ;   in Loop: Header=BB20_44 Depth=2
	global_load_dwordx2 v[31:32], v[5:6], off offset:-8
	v_and_b32_e32 v36, 0x7fffffff, v36
.LBB20_215:                             ;   in Loop: Header=BB20_44 Depth=2
	s_waitcnt vmcnt(0)
	v_add_f64 v[27:28], v[31:32], -v[33:34]
	v_add_f64 v[1:2], v[1:2], v[33:34]
	global_store_dwordx2 v[5:6], v[27:28], off offset:-8
	global_load_dwordx2 v[31:32], v10, s[72:73] offset:-8
	s_waitcnt vmcnt(0)
	v_div_scale_f64 v[39:40], s[8:9], v[27:28], v[27:28], v[31:32]
	v_div_scale_f64 v[45:46], vcc, v[31:32], v[27:28], v[31:32]
	v_rcp_f64_e32 v[41:42], v[39:40]
	v_fma_f64 v[43:44], -v[39:40], v[41:42], 1.0
	v_fma_f64 v[41:42], v[41:42], v[43:44], v[41:42]
	v_fma_f64 v[43:44], -v[39:40], v[41:42], 1.0
	v_fma_f64 v[41:42], v[41:42], v[43:44], v[41:42]
	v_mul_f64 v[43:44], v[45:46], v[41:42]
	v_fma_f64 v[39:40], -v[39:40], v[43:44], v[45:46]
	v_div_fmas_f64 v[39:40], v[39:40], v[41:42], v[43:44]
	v_div_fixup_f64 v[39:40], v[39:40], v[27:28], v[31:32]
	v_fma_f64 v[31:32], v[31:32], v[39:40], 0
	v_fma_f64 v[33:34], v[39:40], v[39:40], v[29:30]
	v_add_f64 v[41:42], v[37:38], v[31:32]
	v_add_f64 v[35:36], v[35:36], v[31:32]
	;; [unrolled: 1-line block ×3, first 2 shown]
	v_ldexp_f64 v[41:42], -v[41:42], 3
	v_fma_f64 v[33:34], |v[1:2]|, v[33:34], v[41:42]
	v_add_f64 v[33:34], v[33:34], -v[31:32]
	v_add_f64 v[31:32], v[37:38], v[31:32]
	v_add_f64 v[33:34], v[15:16], v[33:34]
	;; [unrolled: 1-line block ×3, first 2 shown]
	v_mul_f64 v[33:34], s[26:27], v[33:34]
	v_cmp_nle_f64_e64 s[8:9], |v[31:32]|, v[33:34]
	s_and_saveexec_b64 s[12:13], s[8:9]
	s_cbranch_execz .LBB20_235
; %bb.216:                              ;   in Loop: Header=BB20_44 Depth=2
	v_mul_f64 v[33:34], v[39:40], v[39:40]
	s_mov_b32 s20, 1
	s_mov_b64 s[82:83], 0
	s_branch .LBB20_218
.LBB20_217:                             ;   in Loop: Header=BB20_218 Depth=3
	s_waitcnt vmcnt(0)
	v_add_f64 v[27:28], v[27:28], -v[33:34]
	v_add_f64 v[1:2], v[1:2], v[33:34]
	s_add_i32 s37, s20, 1
	s_cmp_gt_u32 s20, 48
	s_cselect_b64 s[10:11], -1, 0
	s_mov_b32 s20, s37
	global_store_dwordx2 v[5:6], v[27:28], off offset:-8
	global_load_dwordx2 v[37:38], v10, s[72:73] offset:-8
	s_waitcnt vmcnt(0)
	v_div_scale_f64 v[39:40], s[8:9], v[27:28], v[27:28], v[37:38]
	v_div_scale_f64 v[45:46], vcc, v[37:38], v[27:28], v[37:38]
	v_rcp_f64_e32 v[41:42], v[39:40]
	v_fma_f64 v[43:44], -v[39:40], v[41:42], 1.0
	v_fma_f64 v[41:42], v[41:42], v[43:44], v[41:42]
	v_fma_f64 v[43:44], -v[39:40], v[41:42], 1.0
	v_fma_f64 v[41:42], v[41:42], v[43:44], v[41:42]
	v_mul_f64 v[43:44], v[45:46], v[41:42]
	v_fma_f64 v[39:40], -v[39:40], v[43:44], v[45:46]
	v_div_fmas_f64 v[39:40], v[39:40], v[41:42], v[43:44]
	v_div_fixup_f64 v[39:40], v[39:40], v[27:28], v[37:38]
	v_fma_f64 v[37:38], v[37:38], v[39:40], 0
	v_fma_f64 v[33:34], v[39:40], v[39:40], v[29:30]
	v_add_f64 v[41:42], v[35:36], v[37:38]
	v_add_f64 v[31:32], v[31:32], v[37:38]
	;; [unrolled: 1-line block ×3, first 2 shown]
	v_ldexp_f64 v[41:42], -v[41:42], 3
	v_fma_f64 v[33:34], |v[1:2]|, v[33:34], v[41:42]
	v_add_f64 v[33:34], v[33:34], -v[37:38]
	v_add_f64 v[33:34], v[15:16], v[33:34]
	v_add_f64 v[33:34], v[31:32], v[33:34]
	;; [unrolled: 1-line block ×3, first 2 shown]
	v_mul_f64 v[33:34], s[26:27], v[33:34]
	v_cmp_le_f64_e64 s[8:9], |v[31:32]|, v[33:34]
	v_mul_f64 v[33:34], v[39:40], v[39:40]
	s_or_b64 s[8:9], s[10:11], s[8:9]
	s_and_b64 s[8:9], exec, s[8:9]
	s_or_b64 s[82:83], s[8:9], s[82:83]
	s_andn2_b64 exec, exec, s[82:83]
	s_cbranch_execz .LBB20_234
.LBB20_218:                             ;   Parent Loop BB20_4 Depth=1
                                        ;     Parent Loop BB20_44 Depth=2
                                        ; =>    This Loop Header: Depth=3
                                        ;         Child Loop BB20_232 Depth 4
	global_load_dwordx2 v[37:38], v[5:6], off offset:-16
	s_waitcnt vmcnt(0)
	v_mul_f64 v[41:42], v[27:28], v[37:38]
	v_fma_f64 v[39:40], -v[29:30], v[37:38], v[31:32]
	v_add_f64 v[29:30], v[33:34], v[29:30]
	v_add_f64 v[37:38], v[27:28], v[37:38]
	v_mul_f64 v[35:36], v[31:32], v[41:42]
	v_fma_f64 v[39:40], -v[27:28], v[33:34], v[39:40]
	v_mul_f64 v[33:34], v[29:30], v[41:42]
	v_mul_f64 v[41:42], v[35:36], -4.0
	v_fma_f64 v[37:38], v[31:32], v[37:38], -v[33:34]
	v_mul_f64 v[33:34], v[41:42], v[39:40]
	v_cmp_le_f64_e64 s[8:9], 0, v[37:38]
	v_fma_f64 v[33:34], v[37:38], v[37:38], v[33:34]
	v_cmp_lt_f64_e64 vcc, |v[33:34]|, s[22:23]
	v_cndmask_b32_e32 v20, 0, v68, vcc
	v_ldexp_f64 v[33:34], |v[33:34]|, v20
	v_cndmask_b32_e32 v20, 0, v69, vcc
	v_rsq_f64_e32 v[41:42], v[33:34]
	v_cmp_class_f64_e32 vcc, v[33:34], v67
	v_mul_f64 v[43:44], v[33:34], v[41:42]
	v_mul_f64 v[41:42], v[41:42], 0.5
	v_fma_f64 v[45:46], -v[41:42], v[43:44], 0.5
	v_fma_f64 v[43:44], v[43:44], v[45:46], v[43:44]
	v_fma_f64 v[41:42], v[41:42], v[45:46], v[41:42]
	v_fma_f64 v[45:46], -v[43:44], v[43:44], v[33:34]
	v_fma_f64 v[43:44], v[45:46], v[41:42], v[43:44]
	v_fma_f64 v[45:46], -v[43:44], v[43:44], v[33:34]
	v_fma_f64 v[41:42], v[45:46], v[41:42], v[43:44]
	v_ldexp_f64 v[41:42], v[41:42], v20
	v_cndmask_b32_e32 v42, v42, v34, vcc
	v_cndmask_b32_e32 v41, v41, v33, vcc
                                        ; implicit-def: $vgpr33_vgpr34
	s_and_saveexec_b64 s[10:11], s[8:9]
	s_xor_b64 s[8:9], exec, s[10:11]
	s_cbranch_execz .LBB20_220
; %bb.219:                              ;   in Loop: Header=BB20_218 Depth=3
	v_add_f64 v[33:34], v[37:38], v[41:42]
	v_add_f64 v[35:36], v[39:40], v[39:40]
	v_div_scale_f64 v[37:38], s[10:11], v[35:36], v[35:36], v[33:34]
	v_div_scale_f64 v[43:44], vcc, v[33:34], v[35:36], v[33:34]
	v_rcp_f64_e32 v[39:40], v[37:38]
	v_fma_f64 v[41:42], -v[37:38], v[39:40], 1.0
	v_fma_f64 v[39:40], v[39:40], v[41:42], v[39:40]
	v_fma_f64 v[41:42], -v[37:38], v[39:40], 1.0
	v_fma_f64 v[39:40], v[39:40], v[41:42], v[39:40]
	v_mul_f64 v[41:42], v[43:44], v[39:40]
	v_fma_f64 v[37:38], -v[37:38], v[41:42], v[43:44]
	v_div_fmas_f64 v[37:38], v[37:38], v[39:40], v[41:42]
                                        ; implicit-def: $vgpr41_vgpr42
	v_div_fixup_f64 v[33:34], v[37:38], v[35:36], v[33:34]
                                        ; implicit-def: $vgpr35_vgpr36
                                        ; implicit-def: $vgpr37_vgpr38
.LBB20_220:                             ;   in Loop: Header=BB20_218 Depth=3
	s_andn2_saveexec_b64 s[8:9], s[8:9]
	s_cbranch_execz .LBB20_222
; %bb.221:                              ;   in Loop: Header=BB20_218 Depth=3
	v_add_f64 v[33:34], v[35:36], v[35:36]
	v_add_f64 v[35:36], v[37:38], -v[41:42]
	v_div_scale_f64 v[37:38], s[10:11], v[35:36], v[35:36], v[33:34]
	v_div_scale_f64 v[43:44], vcc, v[33:34], v[35:36], v[33:34]
	v_rcp_f64_e32 v[39:40], v[37:38]
	v_fma_f64 v[41:42], -v[37:38], v[39:40], 1.0
	v_fma_f64 v[39:40], v[39:40], v[41:42], v[39:40]
	v_fma_f64 v[41:42], -v[37:38], v[39:40], 1.0
	v_fma_f64 v[39:40], v[39:40], v[41:42], v[39:40]
	v_mul_f64 v[41:42], v[43:44], v[39:40]
	v_fma_f64 v[37:38], -v[37:38], v[41:42], v[43:44]
	v_div_fmas_f64 v[37:38], v[37:38], v[39:40], v[41:42]
	v_div_fixup_f64 v[33:34], v[37:38], v[35:36], v[33:34]
.LBB20_222:                             ;   in Loop: Header=BB20_218 Depth=3
	s_or_b64 exec, exec, s[8:9]
	v_mul_f64 v[35:36], v[31:32], v[33:34]
	v_cmp_lt_f64_e32 vcc, 0, v[35:36]
	s_and_saveexec_b64 s[8:9], vcc
	s_cbranch_execz .LBB20_224
; %bb.223:                              ;   in Loop: Header=BB20_218 Depth=3
	v_div_scale_f64 v[33:34], s[10:11], v[29:30], v[29:30], -v[31:32]
	v_div_scale_f64 v[39:40], vcc, -v[31:32], v[29:30], -v[31:32]
	v_rcp_f64_e32 v[35:36], v[33:34]
	v_fma_f64 v[37:38], -v[33:34], v[35:36], 1.0
	v_fma_f64 v[35:36], v[35:36], v[37:38], v[35:36]
	v_fma_f64 v[37:38], -v[33:34], v[35:36], 1.0
	v_fma_f64 v[35:36], v[35:36], v[37:38], v[35:36]
	v_mul_f64 v[37:38], v[39:40], v[35:36]
	v_fma_f64 v[33:34], -v[33:34], v[37:38], v[39:40]
	v_div_fmas_f64 v[33:34], v[33:34], v[35:36], v[37:38]
	v_div_fixup_f64 v[33:34], v[33:34], v[29:30], -v[31:32]
.LBB20_224:                             ;   in Loop: Header=BB20_218 Depth=3
	s_or_b64 exec, exec, s[8:9]
	v_cmp_lt_f64_e32 vcc, v[25:26], v[1:2]
	v_cmp_lt_f64_e64 s[8:9], 0, v[31:32]
	v_cmp_lt_f64_e64 s[10:11], v[1:2], v[7:8]
	v_add_f64 v[29:30], v[1:2], v[33:34]
	v_cndmask_b32_e32 v20, v25, v1, vcc
	v_cndmask_b32_e32 v35, v26, v2, vcc
	v_cmp_nge_f64_e32 vcc, 0, v[31:32]
	s_and_b64 s[8:9], s[8:9], s[10:11]
	v_cndmask_b32_e64 v8, v8, v2, s[8:9]
	v_cndmask_b32_e64 v7, v7, v1, s[8:9]
	v_cndmask_b32_e32 v26, v35, v26, vcc
	v_cndmask_b32_e32 v25, v20, v25, vcc
	v_cmp_gt_f64_e32 vcc, v[29:30], v[7:8]
	v_cmp_lt_f64_e64 s[8:9], v[29:30], v[25:26]
	s_or_b64 s[10:11], vcc, s[8:9]
	s_and_saveexec_b64 s[8:9], s[10:11]
	s_cbranch_execz .LBB20_230
; %bb.225:                              ;   in Loop: Header=BB20_218 Depth=3
	v_cmp_ngt_f64_e32 vcc, 0, v[31:32]
                                        ; implicit-def: $vgpr33_vgpr34
	s_and_saveexec_b64 s[10:11], vcc
	s_xor_b64 s[10:11], exec, s[10:11]
	s_cbranch_execz .LBB20_227
; %bb.226:                              ;   in Loop: Header=BB20_218 Depth=3
	v_add_f64 v[29:30], v[25:26], -v[1:2]
	v_mul_f64 v[33:34], v[29:30], 0.5
.LBB20_227:                             ;   in Loop: Header=BB20_218 Depth=3
	s_andn2_saveexec_b64 s[10:11], s[10:11]
	s_cbranch_execz .LBB20_229
; %bb.228:                              ;   in Loop: Header=BB20_218 Depth=3
	v_add_f64 v[29:30], v[7:8], -v[1:2]
	v_mul_f64 v[33:34], v[29:30], 0.5
.LBB20_229:                             ;   in Loop: Header=BB20_218 Depth=3
	s_or_b64 exec, exec, s[10:11]
.LBB20_230:                             ;   in Loop: Header=BB20_218 Depth=3
	s_or_b64 exec, exec, s[8:9]
	v_mov_b32_e32 v29, 0
	v_mov_b32_e32 v31, 0
	;; [unrolled: 1-line block ×4, first 2 shown]
	s_and_b64 vcc, exec, s[4:5]
	v_mov_b32_e32 v32, 0
	v_mov_b32_e32 v36, 0
	s_cbranch_vccnz .LBB20_217
; %bb.231:                              ;   in Loop: Header=BB20_218 Depth=3
	v_mov_b32_e32 v29, 0
	v_mov_b32_e32 v28, v24
	;; [unrolled: 1-line block ×5, first 2 shown]
	s_mov_b64 s[8:9], s[42:43]
	v_mov_b32_e32 v27, v23
	v_mov_b32_e32 v32, 0
	v_mov_b32_e32 v36, 0
	s_mov_b32 s10, s66
.LBB20_232:                             ;   Parent Loop BB20_4 Depth=1
                                        ;     Parent Loop BB20_44 Depth=2
                                        ;       Parent Loop BB20_218 Depth=3
                                        ; =>      This Inner Loop Header: Depth=4
	global_load_dwordx2 v[37:38], v[27:28], off
	s_add_i32 s10, s10, -1
	s_waitcnt vmcnt(0)
	v_add_f64 v[37:38], v[37:38], -v[33:34]
	global_store_dwordx2 v[27:28], v[37:38], off
	global_load_dwordx2 v[39:40], v10, s[8:9]
	s_add_u32 s8, s8, 8
	s_addc_u32 s9, s9, 0
	s_cmp_eq_u32 s10, 0
	s_waitcnt vmcnt(0)
	v_div_scale_f64 v[41:42], s[58:59], v[37:38], v[37:38], v[39:40]
	v_rcp_f64_e32 v[43:44], v[41:42]
	v_fma_f64 v[45:46], -v[41:42], v[43:44], 1.0
	v_fma_f64 v[43:44], v[43:44], v[45:46], v[43:44]
	v_div_scale_f64 v[45:46], vcc, v[39:40], v[37:38], v[39:40]
	v_fma_f64 v[47:48], -v[41:42], v[43:44], 1.0
	v_fma_f64 v[43:44], v[43:44], v[47:48], v[43:44]
	v_mul_f64 v[47:48], v[45:46], v[43:44]
	v_fma_f64 v[41:42], -v[41:42], v[47:48], v[45:46]
	v_div_fmas_f64 v[41:42], v[41:42], v[43:44], v[47:48]
	v_add_co_u32_e32 v27, vcc, 8, v27
	v_addc_co_u32_e32 v28, vcc, 0, v28, vcc
	v_div_fixup_f64 v[37:38], v[41:42], v[37:38], v[39:40]
	v_fma_f64 v[35:36], v[39:40], v[37:38], v[35:36]
	v_fma_f64 v[29:30], v[37:38], v[37:38], v[29:30]
	v_add_f64 v[31:32], v[31:32], v[35:36]
	s_cbranch_scc0 .LBB20_232
; %bb.233:                              ;   in Loop: Header=BB20_218 Depth=3
	global_load_dwordx2 v[27:28], v[5:6], off offset:-8
	v_and_b32_e32 v32, 0x7fffffff, v32
	s_branch .LBB20_217
.LBB20_234:                             ;   in Loop: Header=BB20_44 Depth=2
	s_or_b64 exec, exec, s[82:83]
.LBB20_235:                             ;   in Loop: Header=BB20_44 Depth=2
	s_or_b64 exec, exec, s[12:13]
.LBB20_236:                             ;   in Loop: Header=BB20_44 Depth=2
	s_or_b64 exec, exec, s[16:17]
	v_add_f64 v[6:7], v[3:4], v[1:2]
	s_or_b64 exec, exec, s[14:15]
	global_store_dwordx2 v[21:22], v[6:7], off
	s_and_b64 exec, exec, s[2:3]
	s_cbranch_execz .LBB20_43
.LBB20_237:                             ;   in Loop: Header=BB20_44 Depth=2
	v_xor_b32_e32 v7, 0x80000000, v7
	global_store_dwordx2 v[21:22], v[6:7], off
	s_branch .LBB20_43
.LBB20_238:                             ;   in Loop: Header=BB20_4 Depth=1
	s_or_b64 exec, exec, s[62:63]
	s_waitcnt vmcnt(0)
	s_barrier
	s_and_saveexec_b64 s[2:3], s[0:1]
	v_readlane_b32 s30, v82, 35
	v_readlane_b32 s33, v82, 38
	;; [unrolled: 1-line block ×4, first 2 shown]
	s_cbranch_execz .LBB20_2
; %bb.239:                              ;   in Loop: Header=BB20_4 Depth=1
	s_add_u32 s4, s45, s60
	s_addc_u32 s5, s38, s61
	s_lshl_b64 s[0:1], s[56:57], 2
	v_readlane_b32 s7, v82, 7
	s_add_u32 s7, s7, s0
	v_readlane_b32 s8, v82, 9
	s_addc_u32 s16, s8, s1
	v_readlane_b32 s8, v82, 25
	s_add_u32 s8, s8, s0
	v_readlane_b32 s0, v82, 26
	s_addc_u32 s9, s0, s1
	s_mov_b64 s[10:11], 0
	v_mov_b32_e32 v9, v0
	s_branch .LBB20_242
.LBB20_240:                             ;   in Loop: Header=BB20_242 Depth=2
	v_cmp_lt_f64_e64 vcc, |v[3:4]|, s[22:23]
	v_cndmask_b32_e32 v1, 0, v68, vcc
	v_ldexp_f64 v[1:2], |v[3:4]|, v1
	v_rsq_f64_e32 v[3:4], v[1:2]
	v_mul_f64 v[5:6], v[1:2], v[3:4]
	v_mul_f64 v[3:4], v[3:4], 0.5
	v_fma_f64 v[7:8], -v[3:4], v[5:6], 0.5
	v_fma_f64 v[5:6], v[5:6], v[7:8], v[5:6]
	v_fma_f64 v[3:4], v[3:4], v[7:8], v[3:4]
	v_fma_f64 v[7:8], -v[5:6], v[5:6], v[1:2]
	v_fma_f64 v[5:6], v[7:8], v[3:4], v[5:6]
	v_fma_f64 v[7:8], -v[5:6], v[5:6], v[1:2]
	v_fma_f64 v[3:4], v[7:8], v[3:4], v[5:6]
	v_cndmask_b32_e32 v5, 0, v69, vcc
	v_cmp_class_f64_e32 vcc, v[1:2], v67
	v_ldexp_f64 v[3:4], v[3:4], v5
	v_cndmask_b32_e32 v2, v4, v2, vcc
	v_cndmask_b32_e32 v1, v3, v1, vcc
.LBB20_241:                             ;   in Loop: Header=BB20_242 Depth=2
	v_lshlrev_b64 v[3:4], 3, v[9:10]
	v_mov_b32_e32 v5, s43
	v_add_co_u32_e32 v3, vcc, s42, v3
	v_addc_co_u32_e32 v4, vcc, v5, v4, vcc
	global_load_dwordx2 v[5:6], v[3:4], off
	v_add_u32_e32 v9, s29, v9
	v_xor_b32_e32 v7, 0x80000000, v2
	v_cmp_le_u32_e32 vcc, s54, v9
	s_or_b64 s[10:11], vcc, s[10:11]
	s_waitcnt vmcnt(0)
	v_cmp_gt_f64_e64 s[0:1], 0, v[5:6]
	v_cndmask_b32_e64 v2, v2, v7, s[0:1]
	global_store_dwordx2 v[3:4], v[1:2], off
	s_andn2_b64 exec, exec, s[10:11]
	s_cbranch_execz .LBB20_2
.LBB20_242:                             ;   Parent Loop BB20_4 Depth=1
                                        ; =>  This Loop Header: Depth=2
                                        ;       Child Loop BB20_246 Depth 3
	s_andn2_b64 vcc, exec, s[52:53]
	s_cbranch_vccnz .LBB20_249
; %bb.243:                              ;   in Loop: Header=BB20_242 Depth=2
	v_lshlrev_b64 v[1:2], 2, v[9:10]
	v_mov_b32_e32 v3, s16
	v_add_co_u32_e32 v1, vcc, s7, v1
	v_addc_co_u32_e32 v2, vcc, v3, v2, vcc
	v_mov_b32_e32 v3, 0
	v_mov_b32_e32 v4, 0x3ff00000
	s_mov_b32 s17, 0
	s_mov_b64 s[0:1], s[4:5]
	s_mov_b64 s[12:13], s[8:9]
	v_mov_b32_e32 v5, v9
	s_branch .LBB20_246
.LBB20_244:                             ;   in Loop: Header=BB20_246 Depth=3
	s_or_b64 exec, exec, s[14:15]
	s_waitcnt vmcnt(0)
	v_mul_f64 v[3:4], v[3:4], v[6:7]
.LBB20_245:                             ;   in Loop: Header=BB20_246 Depth=3
	s_add_i32 s17, s17, 1
	s_add_u32 s12, s12, 4
	s_addc_u32 s13, s13, 0
	s_add_u32 s0, s0, 8
	s_addc_u32 s1, s1, 0
	s_cmp_eq_u32 s31, s17
	v_add_u32_e32 v5, s34, v5
	s_cbranch_scc1 .LBB20_240
.LBB20_246:                             ;   Parent Loop BB20_4 Depth=1
                                        ;     Parent Loop BB20_242 Depth=2
                                        ; =>    This Inner Loop Header: Depth=3
	global_load_dword v6, v10, s[12:13]
	s_waitcnt vmcnt(0)
	v_cmp_ne_u32_e32 vcc, 1, v6
	s_cbranch_vccnz .LBB20_245
; %bb.247:                              ;   in Loop: Header=BB20_246 Depth=3
	v_ashrrev_i32_e32 v6, 31, v5
	v_lshlrev_b64 v[6:7], 3, v[5:6]
	v_mov_b32_e32 v8, s6
	v_add_co_u32_e32 v6, vcc, s35, v6
	v_addc_co_u32_e32 v7, vcc, v8, v7, vcc
	global_load_dword v11, v[1:2], off offset:8
	s_nop 0
	global_load_dwordx2 v[6:7], v[6:7], off
	s_waitcnt vmcnt(1)
	v_cmp_ne_u32_e32 vcc, s17, v11
	s_and_saveexec_b64 s[14:15], vcc
	s_cbranch_execz .LBB20_244
; %bb.248:                              ;   in Loop: Header=BB20_246 Depth=3
	v_ashrrev_i32_e32 v12, 31, v11
	v_lshlrev_b64 v[11:12], 3, v[11:12]
	v_mov_b32_e32 v8, s5
	v_add_co_u32_e32 v11, vcc, s4, v11
	v_addc_co_u32_e32 v12, vcc, v8, v12, vcc
	global_load_dwordx2 v[13:14], v10, s[0:1]
	s_nop 0
	global_load_dwordx2 v[11:12], v[11:12], off
	s_waitcnt vmcnt(0)
	v_add_f64 v[11:12], v[11:12], -v[13:14]
	v_div_scale_f64 v[13:14], s[36:37], v[11:12], v[11:12], v[6:7]
	v_div_scale_f64 v[19:20], vcc, v[6:7], v[11:12], v[6:7]
	v_rcp_f64_e32 v[15:16], v[13:14]
	v_fma_f64 v[17:18], -v[13:14], v[15:16], 1.0
	v_fma_f64 v[15:16], v[15:16], v[17:18], v[15:16]
	v_fma_f64 v[17:18], -v[13:14], v[15:16], 1.0
	v_fma_f64 v[15:16], v[15:16], v[17:18], v[15:16]
	v_mul_f64 v[17:18], v[19:20], v[15:16]
	v_fma_f64 v[13:14], -v[13:14], v[17:18], v[19:20]
	v_div_fmas_f64 v[13:14], v[13:14], v[15:16], v[17:18]
	v_div_fixup_f64 v[6:7], v[13:14], v[11:12], v[6:7]
	s_branch .LBB20_244
.LBB20_249:                             ;   in Loop: Header=BB20_242 Depth=2
	v_mov_b32_e32 v1, 0
	v_mov_b32_e32 v2, 0x3ff00000
	s_branch .LBB20_241
.LBB20_250:
	s_endpgm
	.section	.rodata,"a",@progbits
	.p2align	6, 0x0
	.amdhsa_kernel _ZN9rocsolver6v33100L25stedcj_mergeValues_kernelIdEEviiPT_lS3_lS3_S3_PiS2_S2_S2_
		.amdhsa_group_segment_fixed_size 0
		.amdhsa_private_segment_fixed_size 0
		.amdhsa_kernarg_size 344
		.amdhsa_user_sgpr_count 6
		.amdhsa_user_sgpr_private_segment_buffer 1
		.amdhsa_user_sgpr_dispatch_ptr 0
		.amdhsa_user_sgpr_queue_ptr 0
		.amdhsa_user_sgpr_kernarg_segment_ptr 1
		.amdhsa_user_sgpr_dispatch_id 0
		.amdhsa_user_sgpr_flat_scratch_init 0
		.amdhsa_user_sgpr_private_segment_size 0
		.amdhsa_uses_dynamic_stack 0
		.amdhsa_system_sgpr_private_segment_wavefront_offset 0
		.amdhsa_system_sgpr_workgroup_id_x 1
		.amdhsa_system_sgpr_workgroup_id_y 1
		.amdhsa_system_sgpr_workgroup_id_z 1
		.amdhsa_system_sgpr_workgroup_info 0
		.amdhsa_system_vgpr_workitem_id 0
		.amdhsa_next_free_vgpr 83
		.amdhsa_next_free_sgpr 96
		.amdhsa_reserve_vcc 1
		.amdhsa_reserve_flat_scratch 0
		.amdhsa_float_round_mode_32 0
		.amdhsa_float_round_mode_16_64 0
		.amdhsa_float_denorm_mode_32 3
		.amdhsa_float_denorm_mode_16_64 3
		.amdhsa_dx10_clamp 1
		.amdhsa_ieee_mode 1
		.amdhsa_fp16_overflow 0
		.amdhsa_exception_fp_ieee_invalid_op 0
		.amdhsa_exception_fp_denorm_src 0
		.amdhsa_exception_fp_ieee_div_zero 0
		.amdhsa_exception_fp_ieee_overflow 0
		.amdhsa_exception_fp_ieee_underflow 0
		.amdhsa_exception_fp_ieee_inexact 0
		.amdhsa_exception_int_div_zero 0
	.end_amdhsa_kernel
	.section	.text._ZN9rocsolver6v33100L25stedcj_mergeValues_kernelIdEEviiPT_lS3_lS3_S3_PiS2_S2_S2_,"axG",@progbits,_ZN9rocsolver6v33100L25stedcj_mergeValues_kernelIdEEviiPT_lS3_lS3_S3_PiS2_S2_S2_,comdat
.Lfunc_end20:
	.size	_ZN9rocsolver6v33100L25stedcj_mergeValues_kernelIdEEviiPT_lS3_lS3_S3_PiS2_S2_S2_, .Lfunc_end20-_ZN9rocsolver6v33100L25stedcj_mergeValues_kernelIdEEviiPT_lS3_lS3_S3_PiS2_S2_S2_
                                        ; -- End function
	.set _ZN9rocsolver6v33100L25stedcj_mergeValues_kernelIdEEviiPT_lS3_lS3_S3_PiS2_S2_S2_.num_vgpr, 83
	.set _ZN9rocsolver6v33100L25stedcj_mergeValues_kernelIdEEviiPT_lS3_lS3_S3_PiS2_S2_S2_.num_agpr, 0
	.set _ZN9rocsolver6v33100L25stedcj_mergeValues_kernelIdEEviiPT_lS3_lS3_S3_PiS2_S2_S2_.numbered_sgpr, 96
	.set _ZN9rocsolver6v33100L25stedcj_mergeValues_kernelIdEEviiPT_lS3_lS3_S3_PiS2_S2_S2_.num_named_barrier, 0
	.set _ZN9rocsolver6v33100L25stedcj_mergeValues_kernelIdEEviiPT_lS3_lS3_S3_PiS2_S2_S2_.private_seg_size, 0
	.set _ZN9rocsolver6v33100L25stedcj_mergeValues_kernelIdEEviiPT_lS3_lS3_S3_PiS2_S2_S2_.uses_vcc, 1
	.set _ZN9rocsolver6v33100L25stedcj_mergeValues_kernelIdEEviiPT_lS3_lS3_S3_PiS2_S2_S2_.uses_flat_scratch, 0
	.set _ZN9rocsolver6v33100L25stedcj_mergeValues_kernelIdEEviiPT_lS3_lS3_S3_PiS2_S2_S2_.has_dyn_sized_stack, 0
	.set _ZN9rocsolver6v33100L25stedcj_mergeValues_kernelIdEEviiPT_lS3_lS3_S3_PiS2_S2_S2_.has_recursion, 0
	.set _ZN9rocsolver6v33100L25stedcj_mergeValues_kernelIdEEviiPT_lS3_lS3_S3_PiS2_S2_S2_.has_indirect_call, 0
	.section	.AMDGPU.csdata,"",@progbits
; Kernel info:
; codeLenInByte = 16104
; TotalNumSgprs: 100
; NumVgprs: 83
; ScratchSize: 0
; MemoryBound: 1
; FloatMode: 240
; IeeeMode: 1
; LDSByteSize: 0 bytes/workgroup (compile time only)
; SGPRBlocks: 12
; VGPRBlocks: 20
; NumSGPRsForWavesPerEU: 100
; NumVGPRsForWavesPerEU: 83
; Occupancy: 3
; WaveLimiterHint : 1
; COMPUTE_PGM_RSRC2:SCRATCH_EN: 0
; COMPUTE_PGM_RSRC2:USER_SGPR: 6
; COMPUTE_PGM_RSRC2:TRAP_HANDLER: 0
; COMPUTE_PGM_RSRC2:TGID_X_EN: 1
; COMPUTE_PGM_RSRC2:TGID_Y_EN: 1
; COMPUTE_PGM_RSRC2:TGID_Z_EN: 1
; COMPUTE_PGM_RSRC2:TIDIG_COMP_CNT: 0
	.section	.text._ZN9rocsolver6v33100L26stedcj_mergeVectors_kernelILb0EdEEviiPT0_lS3_lS3_iilS3_S3_Pi,"axG",@progbits,_ZN9rocsolver6v33100L26stedcj_mergeVectors_kernelILb0EdEEviiPT0_lS3_lS3_iilS3_S3_Pi,comdat
	.globl	_ZN9rocsolver6v33100L26stedcj_mergeVectors_kernelILb0EdEEviiPT0_lS3_lS3_iilS3_S3_Pi ; -- Begin function _ZN9rocsolver6v33100L26stedcj_mergeVectors_kernelILb0EdEEviiPT0_lS3_lS3_iilS3_S3_Pi
	.p2align	8
	.type	_ZN9rocsolver6v33100L26stedcj_mergeVectors_kernelILb0EdEEviiPT0_lS3_lS3_iilS3_S3_Pi,@function
_ZN9rocsolver6v33100L26stedcj_mergeVectors_kernelILb0EdEEviiPT0_lS3_lS3_iilS3_S3_Pi: ; @_ZN9rocsolver6v33100L26stedcj_mergeVectors_kernelILb0EdEEviiPT0_lS3_lS3_iilS3_S3_Pi
; %bb.0:
	s_load_dwordx4 s[20:23], s[4:5], 0x28
	s_load_dwordx8 s[12:19], s[4:5], 0x38
	s_mov_b32 s10, s7
	s_waitcnt lgkmcnt(0)
	s_cmp_eq_u64 s[20:21], 0
	s_cbranch_scc1 .LBB21_2
; %bb.1:
	s_ashr_i32 s2, s8, 31
	s_mul_hi_u32 s3, s12, s8
	s_mul_i32 s2, s12, s2
	s_add_i32 s2, s3, s2
	s_mul_i32 s3, s13, s8
	s_add_i32 s3, s2, s3
	s_mul_i32 s2, s12, s8
	s_ashr_i32 s1, s22, 31
	s_lshl_b64 s[2:3], s[2:3], 3
	s_mov_b32 s0, s22
	s_add_u32 s2, s20, s2
	s_addc_u32 s3, s21, s3
	s_lshl_b64 s[0:1], s[0:1], 3
	s_add_u32 s12, s2, s0
	s_addc_u32 s13, s3, s1
	s_branch .LBB21_3
.LBB21_2:
                                        ; implicit-def: $sgpr12_sgpr13
.LBB21_3:
	s_load_dwordx2 s[20:21], s[4:5], 0x0
	s_waitcnt lgkmcnt(0)
	s_mul_i32 s0, s21, 5
	s_add_i32 s0, s0, 2
	s_mul_i32 s0, s0, s8
	s_ashr_i32 s1, s0, 31
	s_lshl_b64 s[2:3], s[0:1], 2
	s_add_u32 s7, s18, s2
	s_addc_u32 s22, s19, s3
	s_ashr_i32 s27, s21, 31
	s_mov_b32 s26, s21
	s_lshl_b64 s[28:29], s[26:27], 2
	s_add_u32 s24, s7, s28
	s_addc_u32 s25, s22, s29
	s_load_dword s33, s[24:25], 0x4
	s_waitcnt lgkmcnt(0)
	s_cmp_ge_i32 s10, s33
	s_cbranch_scc1 .LBB21_47
; %bb.4:
	s_add_u32 s36, s24, s28
	s_addc_u32 s37, s25, s29
	s_add_u32 s38, s36, s28
	s_load_dword s9, s[4:5], 0x64
	s_addc_u32 s39, s37, s29
	s_lshl_b32 s0, s8, 1
	s_mul_i32 s30, s21, s21
	s_mul_i32 s4, s0, s21
	;; [unrolled: 1-line block ×3, first 2 shown]
	s_ashr_i32 s1, s0, 31
	s_ashr_i32 s5, s4, 31
	s_lshl_b64 s[34:35], s[0:1], 3
	s_add_u32 s40, s16, s34
	s_addc_u32 s41, s17, s35
	s_waitcnt lgkmcnt(0)
	s_and_b32 s42, 0xffff, s9
	s_lshl_b32 s43, 2, s20
	s_not_b32 s44, s20
	s_cmp_gt_u32 s42, 1
	s_cselect_b64 s[8:9], -1, 0
	s_ashr_i32 s45, s6, 31
	s_abs_i32 s46, s6
	s_add_u32 s11, s28, s2
	s_addc_u32 s28, s29, s3
	s_add_u32 s11, s18, s11
	s_addc_u32 s28, s19, s28
	;; [unrolled: 2-line block ×3, first 2 shown]
	s_mul_i32 s28, s26, 12
	s_mul_hi_i32 s11, s26, 12
	s_add_u32 s28, s28, s2
	s_addc_u32 s11, s11, s3
	s_add_u32 s28, s18, s28
	s_addc_u32 s11, s19, s11
	s_mov_b32 s31, 0
	s_add_u32 s49, s28, 8
	s_addc_u32 s50, s11, 0
	s_lshl_b64 s[28:29], s[30:31], 3
	s_add_u32 s11, s34, s28
	s_addc_u32 s28, s35, s29
	s_add_u32 s51, s16, s11
	s_addc_u32 s52, s17, s28
	s_lshl_b32 s53, s42, 3
	s_lshl_b64 s[4:5], s[4:5], 3
	s_add_u32 s4, s14, s4
	v_lshlrev_b32_e32 v1, 3, v0
	s_addc_u32 s5, s15, s5
	v_cvt_f32_u32_e32 v3, s43
	v_mov_b32_e32 v2, s5
	v_add_co_u32_e32 v15, vcc, s4, v1
	s_lshl_b64 s[4:5], s[26:27], 4
	s_add_u32 s2, s4, s2
	s_addc_u32 s3, s5, s3
	s_add_u32 s2, s18, s2
	v_rcp_iflag_f32_e32 v3, v3
	v_add_u32_e32 v13, 0, v1
	v_addc_co_u32_e32 v16, vcc, 0, v2, vcc
	v_lshlrev_b32_e32 v1, 2, v0
	s_addc_u32 s3, s19, s3
	v_mov_b32_e32 v2, s3
	v_add_co_u32_e32 v1, vcc, s2, v1
	v_addc_co_u32_e32 v2, vcc, 0, v2, vcc
	v_add_co_u32_e32 v17, vcc, 8, v1
	v_mul_f32_e32 v1, 0x4f7ffffe, v3
	v_cvt_u32_f32_e32 v19, v1
	s_mov_b32 s14, 0
	v_cmp_eq_u32_e64 s[0:1], 0, v0
	v_mov_b32_e32 v14, 0
	v_addc_co_u32_e32 v18, vcc, 0, v2, vcc
	s_lshl_b32 s54, s42, 2
	s_brev_b32 s15, 8
	v_mov_b32_e32 v20, 0x260
                                        ; implicit-def: $vgpr1_vgpr2
	s_branch .LBB21_6
.LBB21_5:                               ;   in Loop: Header=BB21_6 Depth=1
	s_add_i32 s10, s10, 8
	s_cmp_ge_i32 s10, s33
	s_cbranch_scc1 .LBB21_47
.LBB21_6:                               ; =>This Loop Header: Depth=1
                                        ;     Child Loop BB21_14 Depth 2
                                        ;     Child Loop BB21_17 Depth 2
	;; [unrolled: 1-line block ×6, first 2 shown]
                                        ;       Child Loop BB21_35 Depth 3
                                        ;       Child Loop BB21_38 Depth 3
	s_ashr_i32 s11, s10, 31
	s_lshl_b64 s[2:3], s[10:11], 2
	s_add_u32 s4, s7, s2
	s_addc_u32 s5, s22, s3
	s_barrier
	s_load_dwordx2 s[2:3], s[4:5], 0x0
	s_mov_b32 s55, 0
	s_waitcnt lgkmcnt(0)
	s_sub_i32 s3, s3, s2
	s_cmp_lt_i32 s3, 3
	s_cbranch_scc1 .LBB21_11
; %bb.7:                                ;   in Loop: Header=BB21_6 Depth=1
	s_cmp_lt_u32 s3, 5
	s_mov_b32 s55, 1
	s_cbranch_scc1 .LBB21_11
; %bb.8:                                ;   in Loop: Header=BB21_6 Depth=1
	s_cmp_lt_u32 s3, 33
	s_mov_b32 s55, 2
	s_cbranch_scc1 .LBB21_11
; %bb.9:                                ;   in Loop: Header=BB21_6 Depth=1
	s_cmpk_lt_u32 s3, 0xe9
	s_mov_b32 s55, 4
	s_cbranch_scc1 .LBB21_11
; %bb.10:                               ;   in Loop: Header=BB21_6 Depth=1
	s_cmpk_lt_u32 s3, 0x128
	s_cselect_b32 s4, 5, 7
	s_cmpk_lt_u32 s3, 0x79b
	s_cselect_b32 s55, s4, 8
.LBB21_11:                              ;   in Loop: Header=BB21_6 Depth=1
	s_lshl_b32 s4, 1, s55
	v_cvt_f32_u32_e32 v3, s4
	s_add_i32 s3, s3, -1
	s_ashr_i32 s56, s3, 31
	s_add_i32 s3, s3, s56
	v_rcp_iflag_f32_e32 v3, v3
	s_sub_i32 s5, 0, s4
	s_xor_b32 s57, s3, s56
	v_mul_f32_e32 v3, 0x4f7ffffe, v3
	v_cvt_u32_f32_e32 v3, v3
	v_readfirstlane_b32 s3, v3
	s_mul_i32 s5, s5, s3
	s_mul_hi_u32 s5, s3, s5
	s_add_i32 s3, s3, s5
	s_mul_hi_u32 s3, s57, s3
	s_mul_i32 s11, s3, s4
	s_sub_i32 s11, s57, s11
	s_add_i32 s5, s3, 1
	s_sub_i32 s16, s11, s4
	s_cmp_ge_u32 s11, s4
	s_cselect_b32 s3, s5, s3
	s_cselect_b32 s11, s16, s11
	s_add_i32 s5, s3, 1
	s_cmp_ge_u32 s11, s4
	s_cselect_b32 s3, s5, s3
	s_xor_b32 s3, s3, s56
	s_sub_i32 s58, s3, s56
	s_add_i32 s58, s58, 1
	s_lshl_b32 s3, s58, s55
	s_cmp_ge_i32 s6, s3
	s_cselect_b64 s[4:5], -1, 0
	s_cmp_ge_i32 s20, s55
	s_cselect_b64 s[16:17], -1, 0
	s_or_b64 s[4:5], s[16:17], s[4:5]
	s_and_b64 vcc, exec, s[4:5]
	s_cbranch_vccnz .LBB21_5
; %bb.12:                               ;   in Loop: Header=BB21_6 Depth=1
	s_ashr_i32 s3, s2, 31
	s_lshl_b64 s[18:19], s[2:3], 2
	s_add_u32 s11, s24, s18
	s_addc_u32 s29, s25, s19
	s_add_u32 s30, s36, s18
	s_addc_u32 s31, s37, s19
	s_abs_i32 s2, s58
	v_cvt_f32_u32_e32 v3, s2
	s_sub_i32 s5, 0, s2
	s_ashr_i32 s3, s58, 31
	s_xor_b32 s3, s45, s3
	v_rcp_iflag_f32_e32 v3, v3
	v_readfirstlane_b32 s4, v19
	v_mul_f32_e32 v3, 0x4f7ffffe, v3
	v_cvt_u32_f32_e32 v3, v3
	v_readfirstlane_b32 s16, v3
	s_mul_i32 s5, s5, s16
	s_mul_hi_u32 s5, s16, s5
	s_add_i32 s16, s16, s5
	s_mul_hi_u32 s5, s46, s16
	s_mul_i32 s16, s5, s2
	s_sub_i32 s16, s46, s16
	s_add_i32 s17, s5, 1
	s_sub_i32 s26, s16, s2
	s_cmp_ge_u32 s16, s2
	s_cselect_b32 s5, s17, s5
	s_cselect_b32 s16, s26, s16
	s_add_i32 s17, s5, 1
	s_cmp_ge_u32 s16, s2
	s_cselect_b32 s2, s17, s5
	s_xor_b32 s2, s2, s3
	s_sub_i32 s2, s2, s3
	s_ashr_i32 s3, s2, 31
	s_lshl_b64 s[26:27], s[2:3], 2
	s_add_u32 s16, s30, s26
	s_addc_u32 s17, s31, s27
	s_sub_i32 s28, 0, s43
	s_mul_i32 s28, s28, s4
	s_add_i32 s5, s2, s3
	s_mul_hi_u32 s28, s4, s28
	s_xor_b32 s5, s5, s3
	s_add_i32 s4, s4, s28
	s_mul_hi_u32 s4, s5, s4
	s_mul_i32 s4, s4, s43
	s_sub_i32 s4, s5, s4
	s_sub_i32 s5, s4, s43
	s_cmp_ge_u32 s4, s43
	s_cselect_b32 s4, s5, s4
	s_sub_i32 s5, s4, s43
	s_cmp_ge_u32 s4, s43
	s_cselect_b32 s4, s5, s4
	s_xor_b32 s4, s4, s3
	s_sub_i32 s28, s4, s3
	s_sub_i32 s4, s2, s28
	s_ashr_i32 s5, s4, 31
	s_lshl_b64 s[4:5], s[4:5], 2
	s_add_u32 s30, s30, s4
	s_addc_u32 s31, s31, s5
	s_add_u32 s4, s11, s26
	s_addc_u32 s5, s29, s27
	s_load_dword s11, s[4:5], 0x8
	s_cmp_lt_i32 s28, 1
	s_cbranch_scc1 .LBB21_15
; %bb.13:                               ;   in Loop: Header=BB21_6 Depth=1
	s_add_i32 s3, s28, 1
	s_add_u32 s59, s18, s26
	s_addc_u32 s60, s19, s27
	s_ashr_i32 s29, s28, 31
	s_lshl_b64 s[34:35], s[28:29], 2
	s_sub_u32 s29, s59, s34
	s_subb_u32 s35, s60, s35
	s_add_u32 s34, s47, s29
	s_addc_u32 s35, s48, s35
.LBB21_14:                              ;   Parent Loop BB21_6 Depth=1
                                        ; =>  This Inner Loop Header: Depth=2
	s_load_dword s29, s[34:35], 0x0
	s_add_i32 s3, s3, -1
	s_waitcnt lgkmcnt(0)
	s_add_i32 s11, s29, s11
	s_add_u32 s34, s34, 4
	s_addc_u32 s35, s35, 0
	s_cmp_lt_u32 s3, 2
	s_cbranch_scc0 .LBB21_14
.LBB21_15:                              ;   in Loop: Header=BB21_6 Depth=1
	s_load_dword s3, s[16:17], 0x8
	s_nop 0
	s_load_dword s16, s[30:31], 0x8
	s_not_b32 s17, s28
	s_add_i32 s30, s43, s17
	s_cmp_lt_i32 s30, 1
	s_cbranch_scc1 .LBB21_18
; %bb.16:                               ;   in Loop: Header=BB21_6 Depth=1
	s_ashr_i32 s31, s30, 31
	s_lshl_b64 s[30:31], s[30:31], 2
	s_add_u32 s17, s18, s30
	s_addc_u32 s18, s19, s31
	s_add_u32 s17, s17, s26
	s_addc_u32 s19, s18, s27
	;; [unrolled: 2-line block ×3, first 2 shown]
	s_sub_i32 s17, s43, s28
.LBB21_17:                              ;   Parent Loop BB21_6 Depth=1
                                        ; =>  This Inner Loop Header: Depth=2
	s_load_dword s26, s[18:19], 0x0
	s_waitcnt lgkmcnt(0)
	s_add_i32 s11, s26, s11
	s_add_u32 s18, s18, -4
	s_addc_u32 s19, s19, -1
	s_add_i32 s17, s17, -1
	s_cmp_lt_u32 s17, 2
	s_cbranch_scc0 .LBB21_17
.LBB21_18:                              ;   in Loop: Header=BB21_6 Depth=1
	s_waitcnt lgkmcnt(0)
	s_ashr_i32 s17, s16, 31
	s_cmp_lt_i32 s11, 1
	s_cbranch_scc1 .LBB21_21
; %bb.19:                               ;   in Loop: Header=BB21_6 Depth=1
	s_lshl_b64 s[18:19], s[16:17], 2
	s_add_u32 s18, s49, s18
	s_addc_u32 s19, s50, s19
	s_mov_b32 s34, 0
	s_mov_b32 s26, s11
.LBB21_20:                              ;   Parent Loop BB21_6 Depth=1
                                        ; =>  This Inner Loop Header: Depth=2
	s_load_dword s27, s[18:19], 0x0
	s_waitcnt lgkmcnt(0)
	s_cmp_eq_u32 s27, 1
	s_cselect_b64 s[28:29], -1, 0
	s_cmp_lg_u64 s[28:29], 0
	s_addc_u32 s34, s34, 0
	s_add_i32 s26, s26, -1
	s_add_u32 s18, s18, 4
	s_addc_u32 s19, s19, 0
	s_cmp_eq_u32 s26, 0
	s_cbranch_scc0 .LBB21_20
	s_branch .LBB21_22
.LBB21_21:                              ;   in Loop: Header=BB21_6 Depth=1
	s_mov_b32 s34, 0
.LBB21_22:                              ;   in Loop: Header=BB21_6 Depth=1
	s_barrier
	s_load_dword s4, s[4:5], 0x8
	s_mul_i32 s2, s2, s58
	s_sub_i32 s2, s6, s2
	s_waitcnt lgkmcnt(0)
	s_cmp_lt_i32 s2, s4
	s_cbranch_scc0 .LBB21_5
; %bb.23:                               ;   in Loop: Header=BB21_6 Depth=1
	s_add_i32 s4, s2, s3
	s_ashr_i32 s5, s4, 31
	s_lshl_b64 s[2:3], s[4:5], 2
	s_add_u32 s18, s38, s2
	s_addc_u32 s19, s39, s3
	s_load_dword s5, s[18:19], 0x8
	s_mov_b64 s[2:3], -1
	v_cmp_gt_u32_e32 vcc, s34, v0
	s_waitcnt lgkmcnt(0)
	s_cmp_lg_u32 s5, 1
	s_cbranch_scc1 .LBB21_30
; %bb.24:                               ;   in Loop: Header=BB21_6 Depth=1
	v_mov_b32_e32 v1, 0
	v_mov_b32_e32 v2, 0
	s_and_saveexec_b64 s[26:27], vcc
	s_cbranch_execz .LBB21_28
; %bb.25:                               ;   in Loop: Header=BB21_6 Depth=1
	s_mul_i32 s2, s4, s21
	v_add_u32_e32 v1, s2, v0
	v_ashrrev_i32_e32 v2, 31, v1
	v_lshlrev_b64 v[1:2], 3, v[1:2]
	v_mov_b32_e32 v4, s52
	v_add_co_u32_e32 v3, vcc, s51, v1
	v_addc_co_u32_e32 v4, vcc, v4, v2, vcc
	s_lshl_b64 s[2:3], s[16:17], 3
	v_mov_b32_e32 v1, s3
	v_add_co_u32_e32 v5, vcc, s2, v15
	v_addc_co_u32_e32 v6, vcc, v16, v1, vcc
	v_mov_b32_e32 v1, 0
	v_mov_b32_e32 v2, 0
	s_mov_b64 s[28:29], 0
	s_mov_b64 s[30:31], 0
	v_mov_b32_e32 v7, v0
.LBB21_26:                              ;   Parent Loop BB21_6 Depth=1
                                        ; =>  This Inner Loop Header: Depth=2
	v_mov_b32_e32 v9, s31
	v_add_co_u32_e64 v10, s[2:3], s30, v5
	v_add_co_u32_e32 v8, vcc, s30, v3
	v_addc_co_u32_e64 v11, s[2:3], v6, v9, s[2:3]
	v_addc_co_u32_e32 v9, vcc, v4, v9, vcc
	global_load_dwordx2 v[10:11], v[10:11], off
	s_nop 0
	global_load_dwordx2 v[21:22], v[8:9], off
	v_add_u32_e32 v7, s42, v7
	s_add_u32 s30, s30, s53
	s_addc_u32 s31, s31, 0
	s_waitcnt vmcnt(0)
	v_div_scale_f64 v[23:24], s[2:3], v[21:22], v[21:22], v[10:11]
	v_rcp_f64_e32 v[25:26], v[23:24]
	v_fma_f64 v[27:28], -v[23:24], v[25:26], 1.0
	v_fma_f64 v[25:26], v[25:26], v[27:28], v[25:26]
	v_div_scale_f64 v[27:28], vcc, v[10:11], v[21:22], v[10:11]
	v_fma_f64 v[29:30], -v[23:24], v[25:26], 1.0
	v_fma_f64 v[25:26], v[25:26], v[29:30], v[25:26]
	v_mul_f64 v[29:30], v[27:28], v[25:26]
	v_fma_f64 v[23:24], -v[23:24], v[29:30], v[27:28]
	v_div_fmas_f64 v[23:24], v[23:24], v[25:26], v[29:30]
	v_cmp_le_u32_e32 vcc, s34, v7
	s_or_b64 s[28:29], vcc, s[28:29]
	v_div_fixup_f64 v[10:11], v[23:24], v[21:22], v[10:11]
	v_fma_f64 v[1:2], v[10:11], v[10:11], v[1:2]
	global_store_dwordx2 v[8:9], v[10:11], off
	s_andn2_b64 exec, exec, s[28:29]
	s_cbranch_execnz .LBB21_26
; %bb.27:                               ;   in Loop: Header=BB21_6 Depth=1
	s_or_b64 exec, exec, s[28:29]
.LBB21_28:                              ;   in Loop: Header=BB21_6 Depth=1
	s_or_b64 exec, exec, s[26:27]
	s_andn2_b64 vcc, exec, s[8:9]
	s_mov_b32 s5, s42
	ds_write_b64 v13, v[1:2]
	s_waitcnt vmcnt(0) lgkmcnt(0)
	s_barrier
	s_cbranch_vccz .LBB21_45
.LBB21_29:                              ;   in Loop: Header=BB21_6 Depth=1
	ds_read_b64 v[1:2], v14
	s_waitcnt lgkmcnt(0)
	v_cmp_gt_f64_e32 vcc, s[14:15], v[1:2]
	s_and_b64 s[2:3], vcc, exec
	s_cselect_b32 s2, 0x100, 0
	v_ldexp_f64 v[1:2], v[1:2], s2
	s_cselect_b32 s2, 0xffffff80, 0
	v_rsq_f64_e32 v[3:4], v[1:2]
	v_cmp_class_f64_e32 vcc, v[1:2], v20
	v_mul_f64 v[5:6], v[1:2], v[3:4]
	v_mul_f64 v[3:4], v[3:4], 0.5
	v_fma_f64 v[7:8], -v[3:4], v[5:6], 0.5
	v_fma_f64 v[5:6], v[5:6], v[7:8], v[5:6]
	v_fma_f64 v[3:4], v[3:4], v[7:8], v[3:4]
	v_fma_f64 v[7:8], -v[5:6], v[5:6], v[1:2]
	v_fma_f64 v[5:6], v[7:8], v[3:4], v[5:6]
	v_fma_f64 v[7:8], -v[5:6], v[5:6], v[1:2]
	v_fma_f64 v[3:4], v[7:8], v[3:4], v[5:6]
	v_ldexp_f64 v[3:4], v[3:4], s2
	s_load_dword s2, s[18:19], 0x8
	s_waitcnt lgkmcnt(0)
	s_cmp_lg_u32 s2, 1
	s_cselect_b64 s[2:3], -1, 0
	v_cndmask_b32_e32 v2, v4, v2, vcc
	v_cndmask_b32_e32 v1, v3, v1, vcc
.LBB21_30:                              ;   in Loop: Header=BB21_6 Depth=1
	s_add_i32 s5, s55, s44
	s_lshl_b32 s5, 1, s5
	s_ashr_i32 s18, s5, 31
	s_add_i32 s5, s5, s18
	s_xor_b32 s5, s5, s18
	v_cvt_f32_u32_e32 v3, s5
	s_sub_i32 s19, 0, s5
	v_rcp_iflag_f32_e32 v3, v3
	v_mul_f32_e32 v3, 0x4f7ffffe, v3
	v_cvt_u32_f32_e32 v3, v3
	v_readfirstlane_b32 s26, v3
	s_mul_i32 s19, s19, s26
	s_mul_hi_u32 s19, s26, s19
	s_add_i32 s26, s26, s19
	s_mul_hi_u32 s19, s57, s26
	s_mul_i32 s27, s19, s5
	s_sub_i32 s27, s57, s27
	s_add_i32 s26, s19, 1
	s_sub_i32 s28, s27, s5
	s_cmp_ge_u32 s27, s5
	s_cselect_b32 s19, s26, s19
	s_cselect_b32 s27, s28, s27
	s_add_i32 s26, s19, 1
	s_cmp_ge_u32 s27, s5
	s_cselect_b32 s5, s26, s19
	s_xor_b32 s18, s56, s18
	s_xor_b32 s5, s5, s18
	s_sub_i32 s30, s5, s18
	s_cmp_lt_i32 s30, 0
	s_cselect_b64 s[18:19], -1, 0
	s_or_b64 s[2:3], s[2:3], s[18:19]
	s_and_b64 vcc, exec, s[2:3]
	s_cbranch_vccnz .LBB21_5
; %bb.31:                               ;   in Loop: Header=BB21_6 Depth=1
	s_mul_i32 s31, s4, s21
	v_add_u32_e32 v3, s31, v0
	v_ashrrev_i32_e32 v4, 31, v3
	v_lshlrev_b64 v[3:4], 3, v[3:4]
	v_mov_b32_e32 v5, s52
	v_add_co_u32_e32 v3, vcc, s51, v3
	v_addc_co_u32_e32 v4, vcc, v5, v4, vcc
	s_lshl_b64 s[4:5], s[16:17], 2
	v_mov_b32_e32 v6, s5
	v_add_co_u32_e32 v5, vcc, s4, v17
	v_cmp_gt_u32_e64 s[2:3], s34, v0
	v_addc_co_u32_e32 v6, vcc, v18, v6, vcc
	s_mov_b32 s17, 0
	s_branch .LBB21_33
.LBB21_32:                              ;   in Loop: Header=BB21_33 Depth=2
	s_or_b64 exec, exec, s[4:5]
	s_add_i32 s4, s17, 1
	s_cmp_lg_u32 s17, s30
	s_mov_b32 s17, s4
	s_waitcnt vmcnt(0)
	s_barrier
	s_cbranch_scc0 .LBB21_5
.LBB21_33:                              ;   Parent Loop BB21_6 Depth=1
                                        ; =>  This Loop Header: Depth=2
                                        ;       Child Loop BB21_35 Depth 3
                                        ;       Child Loop BB21_38 Depth 3
	s_add_i32 s35, s17, s16
	s_cmp_lt_i32 s17, s11
	s_cselect_b64 s[18:19], -1, 0
	v_mov_b32_e32 v7, 0
	v_mov_b32_e32 v8, 0
	s_and_b64 s[4:5], s[18:19], s[2:3]
	s_and_saveexec_b64 s[26:27], s[4:5]
	s_cbranch_execz .LBB21_37
; %bb.34:                               ;   in Loop: Header=BB21_33 Depth=2
	v_mov_b32_e32 v7, 0
	v_mov_b32_e32 v10, v6
	;; [unrolled: 1-line block ×4, first 2 shown]
	s_mov_b64 s[28:29], 0
	v_mov_b32_e32 v9, v5
	v_mov_b32_e32 v11, v3
	;; [unrolled: 1-line block ×3, first 2 shown]
.LBB21_35:                              ;   Parent Loop BB21_6 Depth=1
                                        ;     Parent Loop BB21_33 Depth=2
                                        ; =>    This Inner Loop Header: Depth=3
	global_load_dword v24, v[9:10], off
	v_mov_b32_e32 v26, s13
	global_load_dwordx2 v[22:23], v[11:12], off
	v_add_u32_e32 v21, s42, v21
	v_cmp_le_u32_e64 s[4:5], s34, v21
	s_or_b64 s[28:29], s[4:5], s[28:29]
	s_waitcnt vmcnt(1)
	v_add_u32_e32 v24, s16, v24
	v_mul_lo_u32 v24, v24, s23
	v_add_u32_e32 v24, s35, v24
	v_ashrrev_i32_e32 v25, 31, v24
	v_lshlrev_b64 v[24:25], 3, v[24:25]
	v_add_co_u32_e32 v24, vcc, s12, v24
	v_addc_co_u32_e32 v25, vcc, v26, v25, vcc
	global_load_dwordx2 v[24:25], v[24:25], off
	v_add_co_u32_e32 v11, vcc, s53, v11
	v_addc_co_u32_e32 v12, vcc, 0, v12, vcc
	v_add_co_u32_e32 v9, vcc, s54, v9
	v_addc_co_u32_e32 v10, vcc, 0, v10, vcc
	s_waitcnt vmcnt(0)
	v_fma_f64 v[7:8], v[24:25], v[22:23], v[7:8]
	s_andn2_b64 exec, exec, s[28:29]
	s_cbranch_execnz .LBB21_35
; %bb.36:                               ;   in Loop: Header=BB21_33 Depth=2
	s_or_b64 exec, exec, s[28:29]
.LBB21_37:                              ;   in Loop: Header=BB21_33 Depth=2
	s_or_b64 exec, exec, s[26:27]
	s_andn2_b64 vcc, exec, s[8:9]
	s_mov_b32 s26, s42
	ds_write_b64 v13, v[7:8]
	s_waitcnt lgkmcnt(0)
	s_barrier
	s_cbranch_vccnz .LBB21_42
.LBB21_38:                              ;   Parent Loop BB21_6 Depth=1
                                        ;     Parent Loop BB21_33 Depth=2
                                        ; =>    This Inner Loop Header: Depth=3
	s_lshr_b32 s27, s26, 1
	v_cmp_gt_u32_e32 vcc, s27, v0
	s_and_b64 s[28:29], s[18:19], vcc
	s_and_saveexec_b64 s[4:5], s[28:29]
	s_cbranch_execz .LBB21_40
; %bb.39:                               ;   in Loop: Header=BB21_38 Depth=3
	v_lshl_add_u32 v9, s27, 3, v13
	ds_read_b64 v[9:10], v9
	s_waitcnt lgkmcnt(0)
	v_add_f64 v[7:8], v[7:8], v[9:10]
	ds_write_b64 v13, v[7:8]
.LBB21_40:                              ;   in Loop: Header=BB21_38 Depth=3
	s_or_b64 exec, exec, s[4:5]
	s_cmp_lt_u32 s26, 4
	s_waitcnt lgkmcnt(0)
	s_barrier
	s_cbranch_scc1 .LBB21_42
; %bb.41:                               ;   in Loop: Header=BB21_38 Depth=3
	s_mov_b32 s26, s27
	s_branch .LBB21_38
.LBB21_42:                              ;   in Loop: Header=BB21_33 Depth=2
	s_and_b64 s[18:19], s[0:1], s[18:19]
	s_and_saveexec_b64 s[4:5], s[18:19]
	s_cbranch_execz .LBB21_32
; %bb.43:                               ;   in Loop: Header=BB21_33 Depth=2
	v_div_scale_f64 v[9:10], s[18:19], v[1:2], v[1:2], v[7:8]
	v_div_scale_f64 v[23:24], vcc, v[7:8], v[1:2], v[7:8]
	s_add_i32 s18, s35, s31
	s_ashr_i32 s19, s18, 31
	s_lshl_b64 s[18:19], s[18:19], 3
	s_add_u32 s18, s40, s18
	s_addc_u32 s19, s41, s19
	v_rcp_f64_e32 v[11:12], v[9:10]
	v_fma_f64 v[21:22], -v[9:10], v[11:12], 1.0
	v_fma_f64 v[11:12], v[11:12], v[21:22], v[11:12]
	v_fma_f64 v[21:22], -v[9:10], v[11:12], 1.0
	v_fma_f64 v[11:12], v[11:12], v[21:22], v[11:12]
	v_mul_f64 v[21:22], v[23:24], v[11:12]
	v_fma_f64 v[9:10], -v[9:10], v[21:22], v[23:24]
	v_div_fmas_f64 v[9:10], v[9:10], v[11:12], v[21:22]
	v_div_fixup_f64 v[7:8], v[9:10], v[1:2], v[7:8]
	global_store_dwordx2 v14, v[7:8], s[18:19]
	s_branch .LBB21_32
.LBB21_44:                              ;   in Loop: Header=BB21_45 Depth=2
	s_or_b64 exec, exec, s[2:3]
	s_cmp_lt_u32 s5, 4
	s_mov_b32 s5, s26
	s_waitcnt lgkmcnt(0)
	s_barrier
	s_cbranch_scc1 .LBB21_29
.LBB21_45:                              ;   Parent Loop BB21_6 Depth=1
                                        ; =>  This Inner Loop Header: Depth=2
	s_lshr_b32 s26, s5, 1
	v_cmp_gt_u32_e32 vcc, s26, v0
	s_and_saveexec_b64 s[2:3], vcc
	s_cbranch_execz .LBB21_44
; %bb.46:                               ;   in Loop: Header=BB21_45 Depth=2
	v_lshl_add_u32 v3, s26, 3, v13
	ds_read_b64 v[3:4], v3
	s_waitcnt lgkmcnt(0)
	v_add_f64 v[1:2], v[1:2], v[3:4]
	ds_write_b64 v13, v[1:2]
	s_branch .LBB21_44
.LBB21_47:
	s_endpgm
	.section	.rodata,"a",@progbits
	.p2align	6, 0x0
	.amdhsa_kernel _ZN9rocsolver6v33100L26stedcj_mergeVectors_kernelILb0EdEEviiPT0_lS3_lS3_iilS3_S3_Pi
		.amdhsa_group_segment_fixed_size 0
		.amdhsa_private_segment_fixed_size 0
		.amdhsa_kernarg_size 344
		.amdhsa_user_sgpr_count 6
		.amdhsa_user_sgpr_private_segment_buffer 1
		.amdhsa_user_sgpr_dispatch_ptr 0
		.amdhsa_user_sgpr_queue_ptr 0
		.amdhsa_user_sgpr_kernarg_segment_ptr 1
		.amdhsa_user_sgpr_dispatch_id 0
		.amdhsa_user_sgpr_flat_scratch_init 0
		.amdhsa_user_sgpr_private_segment_size 0
		.amdhsa_uses_dynamic_stack 0
		.amdhsa_system_sgpr_private_segment_wavefront_offset 0
		.amdhsa_system_sgpr_workgroup_id_x 1
		.amdhsa_system_sgpr_workgroup_id_y 1
		.amdhsa_system_sgpr_workgroup_id_z 1
		.amdhsa_system_sgpr_workgroup_info 0
		.amdhsa_system_vgpr_workitem_id 0
		.amdhsa_next_free_vgpr 31
		.amdhsa_next_free_sgpr 61
		.amdhsa_reserve_vcc 1
		.amdhsa_reserve_flat_scratch 0
		.amdhsa_float_round_mode_32 0
		.amdhsa_float_round_mode_16_64 0
		.amdhsa_float_denorm_mode_32 3
		.amdhsa_float_denorm_mode_16_64 3
		.amdhsa_dx10_clamp 1
		.amdhsa_ieee_mode 1
		.amdhsa_fp16_overflow 0
		.amdhsa_exception_fp_ieee_invalid_op 0
		.amdhsa_exception_fp_denorm_src 0
		.amdhsa_exception_fp_ieee_div_zero 0
		.amdhsa_exception_fp_ieee_overflow 0
		.amdhsa_exception_fp_ieee_underflow 0
		.amdhsa_exception_fp_ieee_inexact 0
		.amdhsa_exception_int_div_zero 0
	.end_amdhsa_kernel
	.section	.text._ZN9rocsolver6v33100L26stedcj_mergeVectors_kernelILb0EdEEviiPT0_lS3_lS3_iilS3_S3_Pi,"axG",@progbits,_ZN9rocsolver6v33100L26stedcj_mergeVectors_kernelILb0EdEEviiPT0_lS3_lS3_iilS3_S3_Pi,comdat
.Lfunc_end21:
	.size	_ZN9rocsolver6v33100L26stedcj_mergeVectors_kernelILb0EdEEviiPT0_lS3_lS3_iilS3_S3_Pi, .Lfunc_end21-_ZN9rocsolver6v33100L26stedcj_mergeVectors_kernelILb0EdEEviiPT0_lS3_lS3_iilS3_S3_Pi
                                        ; -- End function
	.set _ZN9rocsolver6v33100L26stedcj_mergeVectors_kernelILb0EdEEviiPT0_lS3_lS3_iilS3_S3_Pi.num_vgpr, 31
	.set _ZN9rocsolver6v33100L26stedcj_mergeVectors_kernelILb0EdEEviiPT0_lS3_lS3_iilS3_S3_Pi.num_agpr, 0
	.set _ZN9rocsolver6v33100L26stedcj_mergeVectors_kernelILb0EdEEviiPT0_lS3_lS3_iilS3_S3_Pi.numbered_sgpr, 61
	.set _ZN9rocsolver6v33100L26stedcj_mergeVectors_kernelILb0EdEEviiPT0_lS3_lS3_iilS3_S3_Pi.num_named_barrier, 0
	.set _ZN9rocsolver6v33100L26stedcj_mergeVectors_kernelILb0EdEEviiPT0_lS3_lS3_iilS3_S3_Pi.private_seg_size, 0
	.set _ZN9rocsolver6v33100L26stedcj_mergeVectors_kernelILb0EdEEviiPT0_lS3_lS3_iilS3_S3_Pi.uses_vcc, 1
	.set _ZN9rocsolver6v33100L26stedcj_mergeVectors_kernelILb0EdEEviiPT0_lS3_lS3_iilS3_S3_Pi.uses_flat_scratch, 0
	.set _ZN9rocsolver6v33100L26stedcj_mergeVectors_kernelILb0EdEEviiPT0_lS3_lS3_iilS3_S3_Pi.has_dyn_sized_stack, 0
	.set _ZN9rocsolver6v33100L26stedcj_mergeVectors_kernelILb0EdEEviiPT0_lS3_lS3_iilS3_S3_Pi.has_recursion, 0
	.set _ZN9rocsolver6v33100L26stedcj_mergeVectors_kernelILb0EdEEviiPT0_lS3_lS3_iilS3_S3_Pi.has_indirect_call, 0
	.section	.AMDGPU.csdata,"",@progbits
; Kernel info:
; codeLenInByte = 2564
; TotalNumSgprs: 65
; NumVgprs: 31
; ScratchSize: 0
; MemoryBound: 0
; FloatMode: 240
; IeeeMode: 1
; LDSByteSize: 0 bytes/workgroup (compile time only)
; SGPRBlocks: 8
; VGPRBlocks: 7
; NumSGPRsForWavesPerEU: 65
; NumVGPRsForWavesPerEU: 31
; Occupancy: 8
; WaveLimiterHint : 1
; COMPUTE_PGM_RSRC2:SCRATCH_EN: 0
; COMPUTE_PGM_RSRC2:USER_SGPR: 6
; COMPUTE_PGM_RSRC2:TRAP_HANDLER: 0
; COMPUTE_PGM_RSRC2:TGID_X_EN: 1
; COMPUTE_PGM_RSRC2:TGID_Y_EN: 1
; COMPUTE_PGM_RSRC2:TGID_Z_EN: 1
; COMPUTE_PGM_RSRC2:TIDIG_COMP_CNT: 0
	.section	.text._ZN9rocsolver6v33100L25stedcj_mergeUpdate_kernelIdEEviiPT_lS3_iilS3_S3_Pi,"axG",@progbits,_ZN9rocsolver6v33100L25stedcj_mergeUpdate_kernelIdEEviiPT_lS3_iilS3_S3_Pi,comdat
	.globl	_ZN9rocsolver6v33100L25stedcj_mergeUpdate_kernelIdEEviiPT_lS3_iilS3_S3_Pi ; -- Begin function _ZN9rocsolver6v33100L25stedcj_mergeUpdate_kernelIdEEviiPT_lS3_iilS3_S3_Pi
	.p2align	8
	.type	_ZN9rocsolver6v33100L25stedcj_mergeUpdate_kernelIdEEviiPT_lS3_iilS3_S3_Pi,@function
_ZN9rocsolver6v33100L25stedcj_mergeUpdate_kernelIdEEviiPT_lS3_iilS3_S3_Pi: ; @_ZN9rocsolver6v33100L25stedcj_mergeUpdate_kernelIdEEviiPT_lS3_iilS3_S3_Pi
; %bb.0:
	s_load_dwordx4 s[0:3], s[4:5], 0x18
	s_load_dwordx8 s[12:19], s[4:5], 0x28
	s_mov_b32 s10, s7
	s_mov_b64 s[20:21], 0
	s_waitcnt lgkmcnt(0)
	s_cmp_lg_u64 s[0:1], 0
	s_cbranch_scc0 .LBB22_27
; %bb.1:
	s_ashr_i32 s9, s8, 31
	s_ashr_i32 s23, s2, 31
	s_mov_b32 s22, s2
	s_mul_hi_u32 s2, s12, s8
	s_mul_i32 s7, s12, s9
	s_add_i32 s2, s2, s7
	s_mul_i32 s7, s13, s8
	s_add_i32 s13, s2, s7
	s_mul_i32 s12, s12, s8
	s_lshl_b64 s[12:13], s[12:13], 3
	s_add_u32 s2, s0, s12
	s_addc_u32 s7, s1, s13
	s_lshl_b64 s[0:1], s[22:23], 3
	s_add_u32 s12, s2, s0
	s_addc_u32 s13, s7, s1
	s_andn2_b64 vcc, exec, s[20:21]
	s_cbranch_vccnz .LBB22_3
.LBB22_2:
	s_ashr_i32 s9, s8, 31
                                        ; implicit-def: $sgpr12_sgpr13
.LBB22_3:
	s_load_dwordx2 s[20:21], s[4:5], 0x0
	s_waitcnt lgkmcnt(0)
	s_mul_i32 s0, s21, 5
	s_add_i32 s0, s0, 2
	s_mul_i32 s0, s0, s8
	s_ashr_i32 s1, s0, 31
	s_lshl_b64 s[24:25], s[0:1], 2
	s_add_u32 s2, s18, s24
	s_addc_u32 s7, s19, s25
	s_ashr_i32 s1, s21, 31
	s_mov_b32 s0, s21
	s_lshl_b64 s[26:27], s[0:1], 2
	s_add_u32 s22, s2, s26
	s_addc_u32 s23, s7, s27
	s_load_dword s28, s[22:23], 0x4
	s_waitcnt lgkmcnt(0)
	s_cmp_ge_i32 s10, s28
	s_cbranch_scc1 .LBB22_26
; %bb.4:
	s_load_dwordx4 s[36:39], s[4:5], 0x8
	s_load_dword s11, s[4:5], 0x54
	v_mov_b32_e32 v2, 0
	s_waitcnt lgkmcnt(0)
	s_mul_i32 s5, s38, s9
	s_mul_hi_u32 s9, s38, s8
	s_mul_i32 s29, s39, s8
	s_add_i32 s5, s9, s5
	s_mul_i32 s4, s38, s8
	s_add_i32 s5, s5, s29
	s_lshl_b64 s[4:5], s[4:5], 3
	s_add_u32 s29, s36, s4
	s_addc_u32 s30, s37, s5
	s_add_u32 s31, s22, s26
	s_addc_u32 s33, s23, s27
	s_add_u32 s34, s31, s26
	s_mul_i32 s4, s8, s21
	s_addc_u32 s35, s33, s27
	s_lshl_b32 s4, s4, 1
	s_ashr_i32 s5, s4, 31
	s_lshl_b64 s[8:9], s[4:5], 3
	s_add_u32 s5, s14, s8
	s_addc_u32 s8, s15, s9
	s_lshl_b64 s[0:1], s[0:1], 3
	s_add_u32 s36, s5, s0
	s_addc_u32 s37, s8, s1
	s_lshl_b32 s39, 2, s20
	v_cvt_f32_u32_e32 v1, s39
	s_mul_i32 s4, s4, s21
	s_ashr_i32 s5, s4, 31
	s_and_b32 s38, 0xffff, s11
	s_ashr_i32 s40, s6, 31
	s_abs_i32 s41, s6
	v_rcp_iflag_f32_e32 v1, v1
	s_add_u32 s8, s26, s24
	s_addc_u32 s9, s27, s25
	s_add_u32 s8, s18, s8
	s_addc_u32 s9, s19, s9
	v_mul_f32_e32 v1, 0x4f7ffffe, v1
	s_add_u32 s24, s8, 8
	v_cvt_u32_f32_e32 v1, v1
	s_addc_u32 s25, s9, 0
	s_lshl_b32 s26, s38, 3
	s_lshl_b64 s[4:5], s[4:5], 3
	s_add_u32 s27, s16, s4
	v_cmp_eq_u32_e64 s[0:1], 0, v0
	s_addc_u32 s42, s17, s5
	s_branch .LBB22_7
.LBB22_5:                               ;   in Loop: Header=BB22_7 Depth=1
	s_or_b64 exec, exec, s[4:5]
.LBB22_6:                               ;   in Loop: Header=BB22_7 Depth=1
	s_add_i32 s10, s10, 8
	s_cmp_ge_i32 s10, s28
	s_cbranch_scc1 .LBB22_26
.LBB22_7:                               ; =>This Loop Header: Depth=1
                                        ;     Child Loop BB22_15 Depth 2
                                        ;     Child Loop BB22_18 Depth 2
	;; [unrolled: 1-line block ×3, first 2 shown]
	s_ashr_i32 s11, s10, 31
	s_lshl_b64 s[4:5], s[10:11], 2
	s_add_u32 s4, s2, s4
	s_addc_u32 s5, s7, s5
	s_waitcnt vmcnt(0)
	s_barrier
	global_load_dwordx2 v[3:4], v2, s[4:5]
	s_waitcnt vmcnt(0)
	v_readfirstlane_b32 s4, v3
	v_readfirstlane_b32 s5, v4
	s_sub_i32 s8, s5, s4
	s_cmp_lt_i32 s8, 3
	s_mov_b32 s5, 0
	s_cbranch_scc1 .LBB22_12
; %bb.8:                                ;   in Loop: Header=BB22_7 Depth=1
	s_cmp_lt_u32 s8, 5
	s_mov_b32 s5, 1
	s_cbranch_scc1 .LBB22_12
; %bb.9:                                ;   in Loop: Header=BB22_7 Depth=1
	s_cmp_lt_u32 s8, 33
	s_mov_b32 s5, 2
	s_cbranch_scc1 .LBB22_12
; %bb.10:                               ;   in Loop: Header=BB22_7 Depth=1
	s_cmpk_lt_u32 s8, 0xe9
	s_mov_b32 s5, 4
	s_cbranch_scc1 .LBB22_12
; %bb.11:                               ;   in Loop: Header=BB22_7 Depth=1
	s_cmpk_lt_u32 s8, 0x128
	s_cselect_b32 s5, 5, 7
	s_cmpk_lt_u32 s8, 0x79b
	s_cselect_b32 s5, s5, 8
.LBB22_12:                              ;   in Loop: Header=BB22_7 Depth=1
	s_lshl_b32 s9, 1, s5
	v_cvt_f32_u32_e32 v3, s9
	s_add_i32 s8, s8, -1
	s_sub_i32 s14, 0, s9
	s_ashr_i32 s11, s8, 31
	v_rcp_iflag_f32_e32 v3, v3
	s_add_i32 s8, s8, s11
	s_xor_b32 s8, s8, s11
	v_mul_f32_e32 v3, 0x4f7ffffe, v3
	v_cvt_u32_f32_e32 v3, v3
	v_readfirstlane_b32 s15, v3
	s_mul_i32 s14, s14, s15
	s_mul_hi_u32 s14, s15, s14
	s_add_i32 s15, s15, s14
	s_mul_hi_u32 s14, s8, s15
	s_mul_i32 s16, s14, s9
	s_sub_i32 s8, s8, s16
	s_add_i32 s15, s14, 1
	s_sub_i32 s16, s8, s9
	s_cmp_ge_u32 s8, s9
	s_cselect_b32 s14, s15, s14
	s_cselect_b32 s8, s16, s8
	s_add_i32 s15, s14, 1
	s_cmp_ge_u32 s8, s9
	s_cselect_b32 s8, s15, s14
	s_xor_b32 s8, s8, s11
	s_sub_i32 s11, s8, s11
	s_add_i32 s11, s11, 1
	s_lshl_b32 s8, s11, s5
	s_cmp_ge_i32 s6, s8
	s_cselect_b64 s[8:9], -1, 0
	s_cmp_ge_i32 s20, s5
	s_cselect_b64 s[14:15], -1, 0
	s_or_b64 s[8:9], s[14:15], s[8:9]
	s_and_b64 vcc, exec, s[8:9]
	s_cbranch_vccnz .LBB22_6
; %bb.13:                               ;   in Loop: Header=BB22_7 Depth=1
	s_ashr_i32 s5, s4, 31
	s_lshl_b64 s[8:9], s[4:5], 2
	s_add_u32 s43, s22, s8
	s_addc_u32 s45, s23, s9
	s_add_u32 s44, s31, s8
	s_addc_u32 s46, s33, s9
	s_abs_i32 s4, s11
	v_cvt_f32_u32_e32 v3, s4
	s_sub_i32 s14, 0, s4
	s_ashr_i32 s5, s11, 31
	s_xor_b32 s5, s40, s5
	v_rcp_iflag_f32_e32 v3, v3
	v_mul_f32_e32 v3, 0x4f7ffffe, v3
	v_cvt_u32_f32_e32 v3, v3
	v_readfirstlane_b32 s15, v3
	s_mul_i32 s14, s14, s15
	s_mul_hi_u32 s14, s15, s14
	s_add_i32 s15, s15, s14
	s_mul_hi_u32 s14, s41, s15
	s_mul_i32 s15, s14, s4
	s_sub_i32 s15, s41, s15
	s_add_i32 s16, s14, 1
	s_sub_i32 s17, s15, s4
	s_cmp_ge_u32 s15, s4
	s_cselect_b32 s14, s16, s14
	s_cselect_b32 s15, s17, s15
	s_add_i32 s16, s14, 1
	s_cmp_ge_u32 s15, s4
	s_cselect_b32 s4, s16, s14
	s_xor_b32 s4, s4, s5
	s_sub_i32 s4, s4, s5
	s_ashr_i32 s5, s4, 31
	s_lshl_b64 s[14:15], s[4:5], 2
	s_add_u32 s16, s44, s14
	s_addc_u32 s17, s46, s15
	s_sub_i32 s19, 0, s39
	global_load_dword v4, v2, s[16:17] offset:8
	v_readfirstlane_b32 s17, v1
	s_add_i32 s18, s4, s5
	s_mul_i32 s19, s19, s17
	s_xor_b32 s16, s18, s5
	s_mul_hi_u32 s18, s17, s19
	s_add_i32 s17, s17, s18
	s_mul_hi_u32 s17, s16, s17
	s_mul_i32 s17, s17, s39
	s_sub_i32 s16, s16, s17
	s_sub_i32 s17, s16, s39
	s_cmp_ge_u32 s16, s39
	s_cselect_b32 s16, s17, s16
	s_sub_i32 s17, s16, s39
	s_cmp_ge_u32 s16, s39
	s_cselect_b32 s16, s17, s16
	s_xor_b32 s16, s16, s5
	s_sub_i32 s16, s16, s5
	s_sub_i32 s18, s4, s16
	s_ashr_i32 s19, s18, 31
	s_lshl_b64 s[18:19], s[18:19], 2
	s_add_u32 s18, s44, s18
	s_addc_u32 s19, s46, s19
	s_add_u32 s44, s43, s14
	s_addc_u32 s45, s45, s15
	global_load_dword v5, v2, s[44:45] offset:8
	global_load_dword v3, v2, s[18:19] offset:8
	s_cmp_lt_i32 s16, 1
	s_waitcnt vmcnt(2)
	v_readfirstlane_b32 s5, v4
	s_waitcnt vmcnt(1)
	v_mov_b32_e32 v4, v5
	s_cbranch_scc1 .LBB22_16
; %bb.14:                               ;   in Loop: Header=BB22_7 Depth=1
	s_add_i32 s43, s16, 1
	s_add_u32 s44, s8, s14
	s_addc_u32 s45, s9, s15
	s_ashr_i32 s17, s16, 31
	s_lshl_b64 s[18:19], s[16:17], 2
	s_sub_u32 s17, s44, s18
	s_subb_u32 s19, s45, s19
	s_add_u32 s18, s24, s17
	s_addc_u32 s19, s25, s19
	v_mov_b32_e32 v4, v5
.LBB22_15:                              ;   Parent Loop BB22_7 Depth=1
                                        ; =>  This Inner Loop Header: Depth=2
	global_load_dword v6, v2, s[18:19]
	s_add_i32 s43, s43, -1
	s_add_u32 s18, s18, 4
	s_addc_u32 s19, s19, 0
	s_cmp_lt_u32 s43, 2
	s_waitcnt vmcnt(0)
	v_add_u32_e32 v4, v6, v4
	s_cbranch_scc0 .LBB22_15
.LBB22_16:                              ;   in Loop: Header=BB22_7 Depth=1
	s_not_b32 s17, s16
	s_add_i32 s18, s39, s17
	s_cmp_lt_i32 s18, 1
	s_cbranch_scc1 .LBB22_19
; %bb.17:                               ;   in Loop: Header=BB22_7 Depth=1
	s_ashr_i32 s19, s18, 31
	s_lshl_b64 s[18:19], s[18:19], 2
	s_add_u32 s8, s8, s18
	s_addc_u32 s9, s9, s19
	s_add_u32 s8, s8, s14
	s_addc_u32 s9, s9, s15
	;; [unrolled: 2-line block ×3, first 2 shown]
	s_sub_i32 s14, s39, s16
.LBB22_18:                              ;   Parent Loop BB22_7 Depth=1
                                        ; =>  This Inner Loop Header: Depth=2
	global_load_dword v6, v2, s[8:9]
	s_add_u32 s8, s8, -4
	s_addc_u32 s9, s9, -1
	s_add_i32 s14, s14, -1
	s_cmp_lt_u32 s14, 2
	s_waitcnt vmcnt(0)
	v_add_u32_e32 v4, v6, v4
	s_cbranch_scc0 .LBB22_18
.LBB22_19:                              ;   in Loop: Header=BB22_7 Depth=1
	s_mul_i32 s4, s4, s11
	s_sub_i32 s4, s6, s4
	v_cmp_lt_i32_e32 vcc, s4, v5
	s_cbranch_vccz .LBB22_6
; %bb.20:                               ;   in Loop: Header=BB22_7 Depth=1
	s_add_i32 s8, s4, s5
	s_ashr_i32 s9, s8, 31
	s_lshl_b64 s[4:5], s[8:9], 2
	s_add_u32 s4, s34, s4
	s_addc_u32 s5, s35, s5
	global_load_dword v5, v2, s[4:5] offset:8
	s_waitcnt vmcnt(0)
	v_cmp_ne_u32_e32 vcc, 1, v5
	s_cbranch_vccnz .LBB22_6
; %bb.21:                               ;   in Loop: Header=BB22_7 Depth=1
	s_and_saveexec_b64 s[4:5], s[0:1]
	s_cbranch_execz .LBB22_23
; %bb.22:                               ;   in Loop: Header=BB22_7 Depth=1
	s_lshl_b64 s[14:15], s[8:9], 3
	s_add_u32 s16, s29, s14
	s_addc_u32 s17, s30, s15
	s_add_u32 s14, s36, s14
	s_addc_u32 s15, s37, s15
	global_load_dwordx2 v[5:6], v2, s[14:15]
	s_waitcnt vmcnt(0)
	global_store_dwordx2 v2, v[5:6], s[16:17]
.LBB22_23:                              ;   in Loop: Header=BB22_7 Depth=1
	s_or_b64 exec, exec, s[4:5]
	v_cmp_lt_i32_e32 vcc, v0, v4
	s_and_saveexec_b64 s[4:5], vcc
	s_cbranch_execz .LBB22_5
; %bb.24:                               ;   in Loop: Header=BB22_7 Depth=1
	v_add_u32_e32 v4, v4, v3
	v_add_u32_e32 v3, v3, v0
	s_mul_i32 s9, s8, s21
	s_mul_i32 s8, s8, s3
	v_add_u32_e32 v5, s8, v3
	v_ashrrev_i32_e32 v6, 31, v5
	v_lshlrev_b64 v[5:6], 3, v[5:6]
	v_mov_b32_e32 v7, s13
	v_add_co_u32_e32 v5, vcc, s12, v5
	v_addc_co_u32_e32 v6, vcc, v7, v6, vcc
	v_add_u32_e32 v7, s9, v3
	v_ashrrev_i32_e32 v8, 31, v7
	v_lshlrev_b64 v[7:8], 3, v[7:8]
	v_mov_b32_e32 v9, s42
	v_add_co_u32_e32 v7, vcc, s27, v7
	v_addc_co_u32_e32 v8, vcc, v9, v8, vcc
	s_mov_b64 s[8:9], 0
	s_mov_b64 s[14:15], 0
.LBB22_25:                              ;   Parent Loop BB22_7 Depth=1
                                        ; =>  This Inner Loop Header: Depth=2
	v_mov_b32_e32 v12, s15
	v_add_co_u32_e32 v9, vcc, s14, v7
	v_addc_co_u32_e32 v10, vcc, v8, v12, vcc
	global_load_dwordx2 v[9:10], v[9:10], off
	v_add_co_u32_e32 v11, vcc, s14, v5
	v_add_u32_e32 v3, s38, v3
	s_add_u32 s14, s14, s26
	v_addc_co_u32_e32 v12, vcc, v6, v12, vcc
	s_addc_u32 s15, s15, 0
	v_cmp_ge_i32_e32 vcc, v3, v4
	s_or_b64 s[8:9], vcc, s[8:9]
	s_waitcnt vmcnt(0)
	global_store_dwordx2 v[11:12], v[9:10], off
	s_andn2_b64 exec, exec, s[8:9]
	s_cbranch_execnz .LBB22_25
	s_branch .LBB22_5
.LBB22_26:
	s_endpgm
.LBB22_27:
                                        ; implicit-def: $sgpr12_sgpr13
                                        ; implicit-def: $sgpr9
	s_branch .LBB22_2
	.section	.rodata,"a",@progbits
	.p2align	6, 0x0
	.amdhsa_kernel _ZN9rocsolver6v33100L25stedcj_mergeUpdate_kernelIdEEviiPT_lS3_iilS3_S3_Pi
		.amdhsa_group_segment_fixed_size 0
		.amdhsa_private_segment_fixed_size 0
		.amdhsa_kernarg_size 328
		.amdhsa_user_sgpr_count 6
		.amdhsa_user_sgpr_private_segment_buffer 1
		.amdhsa_user_sgpr_dispatch_ptr 0
		.amdhsa_user_sgpr_queue_ptr 0
		.amdhsa_user_sgpr_kernarg_segment_ptr 1
		.amdhsa_user_sgpr_dispatch_id 0
		.amdhsa_user_sgpr_flat_scratch_init 0
		.amdhsa_user_sgpr_private_segment_size 0
		.amdhsa_uses_dynamic_stack 0
		.amdhsa_system_sgpr_private_segment_wavefront_offset 0
		.amdhsa_system_sgpr_workgroup_id_x 1
		.amdhsa_system_sgpr_workgroup_id_y 1
		.amdhsa_system_sgpr_workgroup_id_z 1
		.amdhsa_system_sgpr_workgroup_info 0
		.amdhsa_system_vgpr_workitem_id 0
		.amdhsa_next_free_vgpr 13
		.amdhsa_next_free_sgpr 47
		.amdhsa_reserve_vcc 1
		.amdhsa_reserve_flat_scratch 0
		.amdhsa_float_round_mode_32 0
		.amdhsa_float_round_mode_16_64 0
		.amdhsa_float_denorm_mode_32 3
		.amdhsa_float_denorm_mode_16_64 3
		.amdhsa_dx10_clamp 1
		.amdhsa_ieee_mode 1
		.amdhsa_fp16_overflow 0
		.amdhsa_exception_fp_ieee_invalid_op 0
		.amdhsa_exception_fp_denorm_src 0
		.amdhsa_exception_fp_ieee_div_zero 0
		.amdhsa_exception_fp_ieee_overflow 0
		.amdhsa_exception_fp_ieee_underflow 0
		.amdhsa_exception_fp_ieee_inexact 0
		.amdhsa_exception_int_div_zero 0
	.end_amdhsa_kernel
	.section	.text._ZN9rocsolver6v33100L25stedcj_mergeUpdate_kernelIdEEviiPT_lS3_iilS3_S3_Pi,"axG",@progbits,_ZN9rocsolver6v33100L25stedcj_mergeUpdate_kernelIdEEviiPT_lS3_iilS3_S3_Pi,comdat
.Lfunc_end22:
	.size	_ZN9rocsolver6v33100L25stedcj_mergeUpdate_kernelIdEEviiPT_lS3_iilS3_S3_Pi, .Lfunc_end22-_ZN9rocsolver6v33100L25stedcj_mergeUpdate_kernelIdEEviiPT_lS3_iilS3_S3_Pi
                                        ; -- End function
	.set _ZN9rocsolver6v33100L25stedcj_mergeUpdate_kernelIdEEviiPT_lS3_iilS3_S3_Pi.num_vgpr, 13
	.set _ZN9rocsolver6v33100L25stedcj_mergeUpdate_kernelIdEEviiPT_lS3_iilS3_S3_Pi.num_agpr, 0
	.set _ZN9rocsolver6v33100L25stedcj_mergeUpdate_kernelIdEEviiPT_lS3_iilS3_S3_Pi.numbered_sgpr, 47
	.set _ZN9rocsolver6v33100L25stedcj_mergeUpdate_kernelIdEEviiPT_lS3_iilS3_S3_Pi.num_named_barrier, 0
	.set _ZN9rocsolver6v33100L25stedcj_mergeUpdate_kernelIdEEviiPT_lS3_iilS3_S3_Pi.private_seg_size, 0
	.set _ZN9rocsolver6v33100L25stedcj_mergeUpdate_kernelIdEEviiPT_lS3_iilS3_S3_Pi.uses_vcc, 1
	.set _ZN9rocsolver6v33100L25stedcj_mergeUpdate_kernelIdEEviiPT_lS3_iilS3_S3_Pi.uses_flat_scratch, 0
	.set _ZN9rocsolver6v33100L25stedcj_mergeUpdate_kernelIdEEviiPT_lS3_iilS3_S3_Pi.has_dyn_sized_stack, 0
	.set _ZN9rocsolver6v33100L25stedcj_mergeUpdate_kernelIdEEviiPT_lS3_iilS3_S3_Pi.has_recursion, 0
	.set _ZN9rocsolver6v33100L25stedcj_mergeUpdate_kernelIdEEviiPT_lS3_iilS3_S3_Pi.has_indirect_call, 0
	.section	.AMDGPU.csdata,"",@progbits
; Kernel info:
; codeLenInByte = 1412
; TotalNumSgprs: 51
; NumVgprs: 13
; ScratchSize: 0
; MemoryBound: 0
; FloatMode: 240
; IeeeMode: 1
; LDSByteSize: 0 bytes/workgroup (compile time only)
; SGPRBlocks: 6
; VGPRBlocks: 3
; NumSGPRsForWavesPerEU: 51
; NumVGPRsForWavesPerEU: 13
; Occupancy: 10
; WaveLimiterHint : 1
; COMPUTE_PGM_RSRC2:SCRATCH_EN: 0
; COMPUTE_PGM_RSRC2:USER_SGPR: 6
; COMPUTE_PGM_RSRC2:TRAP_HANDLER: 0
; COMPUTE_PGM_RSRC2:TGID_X_EN: 1
; COMPUTE_PGM_RSRC2:TGID_Y_EN: 1
; COMPUTE_PGM_RSRC2:TGID_Z_EN: 1
; COMPUTE_PGM_RSRC2:TIDIG_COMP_CNT: 0
	.section	.text._ZN9rocsolver6v33100L8copy_matIdPdNS0_7no_maskEEEvNS0_17copymat_directionEiiT0_iilPT_T1_13rocblas_fill_17rocblas_diagonal_,"axG",@progbits,_ZN9rocsolver6v33100L8copy_matIdPdNS0_7no_maskEEEvNS0_17copymat_directionEiiT0_iilPT_T1_13rocblas_fill_17rocblas_diagonal_,comdat
	.globl	_ZN9rocsolver6v33100L8copy_matIdPdNS0_7no_maskEEEvNS0_17copymat_directionEiiT0_iilPT_T1_13rocblas_fill_17rocblas_diagonal_ ; -- Begin function _ZN9rocsolver6v33100L8copy_matIdPdNS0_7no_maskEEEvNS0_17copymat_directionEiiT0_iilPT_T1_13rocblas_fill_17rocblas_diagonal_
	.p2align	8
	.type	_ZN9rocsolver6v33100L8copy_matIdPdNS0_7no_maskEEEvNS0_17copymat_directionEiiT0_iilPT_T1_13rocblas_fill_17rocblas_diagonal_,@function
_ZN9rocsolver6v33100L8copy_matIdPdNS0_7no_maskEEEvNS0_17copymat_directionEiiT0_iilPT_T1_13rocblas_fill_17rocblas_diagonal_: ; @_ZN9rocsolver6v33100L8copy_matIdPdNS0_7no_maskEEEvNS0_17copymat_directionEiiT0_iilPT_T1_13rocblas_fill_17rocblas_diagonal_
; %bb.0:
	s_load_dword s0, s[4:5], 0x4c
	s_load_dwordx4 s[20:23], s[4:5], 0x0
	s_waitcnt lgkmcnt(0)
	s_lshr_b32 s1, s0, 16
	s_and_b32 s0, s0, 0xffff
	s_mul_i32 s7, s7, s1
	s_mul_i32 s6, s6, s0
	v_add_u32_e32 v1, s7, v1
	v_add_u32_e32 v0, s6, v0
	v_cmp_gt_u32_e32 vcc, s21, v0
	v_cmp_gt_u32_e64 s[0:1], s22, v1
	s_and_b64 s[0:1], s[0:1], vcc
	s_and_saveexec_b64 s[2:3], s[0:1]
	s_cbranch_execz .LBB23_14
; %bb.1:
	s_load_dwordx2 s[2:3], s[4:5], 0x34
	s_waitcnt lgkmcnt(0)
	s_cmpk_lt_i32 s2, 0x7a
	s_cbranch_scc1 .LBB23_4
; %bb.2:
	s_cmpk_gt_i32 s2, 0x7a
	s_cbranch_scc0 .LBB23_5
; %bb.3:
	s_cmpk_lg_i32 s2, 0x7b
	s_mov_b64 s[6:7], -1
	s_cselect_b64 s[10:11], -1, 0
	s_cbranch_execz .LBB23_6
	s_branch .LBB23_7
.LBB23_4:
	s_mov_b64 s[10:11], 0
	s_mov_b64 s[6:7], 0
	s_cbranch_execnz .LBB23_8
	s_branch .LBB23_10
.LBB23_5:
	s_mov_b64 s[6:7], 0
	s_mov_b64 s[10:11], 0
.LBB23_6:
	v_cmp_gt_u32_e32 vcc, v0, v1
	v_cmp_le_u32_e64 s[0:1], v0, v1
	s_andn2_b64 s[6:7], s[6:7], exec
	s_and_b64 s[12:13], vcc, exec
	s_andn2_b64 s[10:11], s[10:11], exec
	s_and_b64 s[0:1], s[0:1], exec
	s_or_b64 s[6:7], s[6:7], s[12:13]
	s_or_b64 s[10:11], s[10:11], s[0:1]
.LBB23_7:
	s_branch .LBB23_10
.LBB23_8:
	s_cmpk_eq_i32 s2, 0x79
	s_mov_b64 s[10:11], -1
	s_cbranch_scc0 .LBB23_10
; %bb.9:
	v_cmp_gt_u32_e32 vcc, v1, v0
	v_cmp_le_u32_e64 s[0:1], v1, v0
	s_andn2_b64 s[6:7], s[6:7], exec
	s_and_b64 s[10:11], vcc, exec
	s_or_b64 s[6:7], s[6:7], s[10:11]
	s_orn2_b64 s[10:11], s[0:1], exec
.LBB23_10:
	s_and_saveexec_b64 s[0:1], s[10:11]
; %bb.11:
	s_cmpk_eq_i32 s3, 0x83
	s_cselect_b64 s[2:3], -1, 0
	v_cmp_eq_u32_e32 vcc, v0, v1
	s_and_b64 s[2:3], s[2:3], vcc
	s_andn2_b64 s[6:7], s[6:7], exec
	s_and_b64 s[2:3], s[2:3], exec
	s_or_b64 s[6:7], s[6:7], s[2:3]
; %bb.12:
	s_or_b64 exec, exec, s[0:1]
	s_and_b64 exec, exec, s[6:7]
	s_cbranch_execz .LBB23_14
; %bb.13:
	s_load_dwordx8 s[12:19], s[4:5], 0x10
	s_ashr_i32 s4, s21, 31
	s_ashr_i32 s5, s22, 31
	s_mul_i32 s4, s4, s8
	s_waitcnt lgkmcnt(0)
	s_mul_i32 s2, s17, s8
	s_mul_hi_u32 s3, s16, s8
	s_add_i32 s3, s3, s2
	s_mul_i32 s2, s16, s8
	s_ashr_i32 s1, s14, 31
	s_lshl_b64 s[2:3], s[2:3], 3
	s_mov_b32 s0, s14
	s_add_u32 s2, s12, s2
	s_addc_u32 s3, s13, s3
	s_lshl_b64 s[0:1], s[0:1], 3
	s_add_u32 s2, s2, s0
	s_mul_hi_u32 s0, s21, s8
	s_addc_u32 s3, s3, s1
	s_add_i32 s0, s0, s4
	s_mul_i32 s4, s21, s8
	s_mul_i32 s1, s4, s5
	s_mul_hi_u32 s5, s4, s22
	s_add_i32 s1, s5, s1
	s_mul_i32 s0, s0, s22
	s_add_i32 s1, s1, s0
	s_mul_i32 s0, s4, s22
	s_lshl_b64 s[0:1], s[0:1], 3
	s_add_u32 s4, s18, s0
	s_addc_u32 s5, s19, s1
	s_cmp_eq_u32 s20, 0
	s_cselect_b32 s0, s15, s21
	v_mad_u64_u32 v[2:3], s[0:1], v1, s0, v[0:1]
	v_mov_b32_e32 v3, 0
	s_cselect_b32 s0, s3, s5
	v_lshlrev_b64 v[4:5], 3, v[2:3]
	s_cselect_b32 s1, s2, s4
	v_mov_b32_e32 v2, s0
	v_add_co_u32_e32 v4, vcc, s1, v4
	v_addc_co_u32_e32 v5, vcc, v2, v5, vcc
	global_load_dwordx2 v[4:5], v[4:5], off
	s_cselect_b32 s0, s21, s15
	v_mad_u64_u32 v[0:1], s[0:1], v1, s0, v[0:1]
	v_mov_b32_e32 v1, v3
	s_cselect_b32 s0, s5, s3
	v_lshlrev_b64 v[0:1], 3, v[0:1]
	s_cselect_b32 s1, s4, s2
	v_mov_b32_e32 v2, s0
	v_add_co_u32_e32 v0, vcc, s1, v0
	v_addc_co_u32_e32 v1, vcc, v2, v1, vcc
	s_waitcnt vmcnt(0)
	global_store_dwordx2 v[0:1], v[4:5], off
.LBB23_14:
	s_endpgm
	.section	.rodata,"a",@progbits
	.p2align	6, 0x0
	.amdhsa_kernel _ZN9rocsolver6v33100L8copy_matIdPdNS0_7no_maskEEEvNS0_17copymat_directionEiiT0_iilPT_T1_13rocblas_fill_17rocblas_diagonal_
		.amdhsa_group_segment_fixed_size 0
		.amdhsa_private_segment_fixed_size 0
		.amdhsa_kernarg_size 320
		.amdhsa_user_sgpr_count 6
		.amdhsa_user_sgpr_private_segment_buffer 1
		.amdhsa_user_sgpr_dispatch_ptr 0
		.amdhsa_user_sgpr_queue_ptr 0
		.amdhsa_user_sgpr_kernarg_segment_ptr 1
		.amdhsa_user_sgpr_dispatch_id 0
		.amdhsa_user_sgpr_flat_scratch_init 0
		.amdhsa_user_sgpr_private_segment_size 0
		.amdhsa_uses_dynamic_stack 0
		.amdhsa_system_sgpr_private_segment_wavefront_offset 0
		.amdhsa_system_sgpr_workgroup_id_x 1
		.amdhsa_system_sgpr_workgroup_id_y 1
		.amdhsa_system_sgpr_workgroup_id_z 1
		.amdhsa_system_sgpr_workgroup_info 0
		.amdhsa_system_vgpr_workitem_id 1
		.amdhsa_next_free_vgpr 6
		.amdhsa_next_free_sgpr 24
		.amdhsa_reserve_vcc 1
		.amdhsa_reserve_flat_scratch 0
		.amdhsa_float_round_mode_32 0
		.amdhsa_float_round_mode_16_64 0
		.amdhsa_float_denorm_mode_32 3
		.amdhsa_float_denorm_mode_16_64 3
		.amdhsa_dx10_clamp 1
		.amdhsa_ieee_mode 1
		.amdhsa_fp16_overflow 0
		.amdhsa_exception_fp_ieee_invalid_op 0
		.amdhsa_exception_fp_denorm_src 0
		.amdhsa_exception_fp_ieee_div_zero 0
		.amdhsa_exception_fp_ieee_overflow 0
		.amdhsa_exception_fp_ieee_underflow 0
		.amdhsa_exception_fp_ieee_inexact 0
		.amdhsa_exception_int_div_zero 0
	.end_amdhsa_kernel
	.section	.text._ZN9rocsolver6v33100L8copy_matIdPdNS0_7no_maskEEEvNS0_17copymat_directionEiiT0_iilPT_T1_13rocblas_fill_17rocblas_diagonal_,"axG",@progbits,_ZN9rocsolver6v33100L8copy_matIdPdNS0_7no_maskEEEvNS0_17copymat_directionEiiT0_iilPT_T1_13rocblas_fill_17rocblas_diagonal_,comdat
.Lfunc_end23:
	.size	_ZN9rocsolver6v33100L8copy_matIdPdNS0_7no_maskEEEvNS0_17copymat_directionEiiT0_iilPT_T1_13rocblas_fill_17rocblas_diagonal_, .Lfunc_end23-_ZN9rocsolver6v33100L8copy_matIdPdNS0_7no_maskEEEvNS0_17copymat_directionEiiT0_iilPT_T1_13rocblas_fill_17rocblas_diagonal_
                                        ; -- End function
	.set _ZN9rocsolver6v33100L8copy_matIdPdNS0_7no_maskEEEvNS0_17copymat_directionEiiT0_iilPT_T1_13rocblas_fill_17rocblas_diagonal_.num_vgpr, 6
	.set _ZN9rocsolver6v33100L8copy_matIdPdNS0_7no_maskEEEvNS0_17copymat_directionEiiT0_iilPT_T1_13rocblas_fill_17rocblas_diagonal_.num_agpr, 0
	.set _ZN9rocsolver6v33100L8copy_matIdPdNS0_7no_maskEEEvNS0_17copymat_directionEiiT0_iilPT_T1_13rocblas_fill_17rocblas_diagonal_.numbered_sgpr, 24
	.set _ZN9rocsolver6v33100L8copy_matIdPdNS0_7no_maskEEEvNS0_17copymat_directionEiiT0_iilPT_T1_13rocblas_fill_17rocblas_diagonal_.num_named_barrier, 0
	.set _ZN9rocsolver6v33100L8copy_matIdPdNS0_7no_maskEEEvNS0_17copymat_directionEiiT0_iilPT_T1_13rocblas_fill_17rocblas_diagonal_.private_seg_size, 0
	.set _ZN9rocsolver6v33100L8copy_matIdPdNS0_7no_maskEEEvNS0_17copymat_directionEiiT0_iilPT_T1_13rocblas_fill_17rocblas_diagonal_.uses_vcc, 1
	.set _ZN9rocsolver6v33100L8copy_matIdPdNS0_7no_maskEEEvNS0_17copymat_directionEiiT0_iilPT_T1_13rocblas_fill_17rocblas_diagonal_.uses_flat_scratch, 0
	.set _ZN9rocsolver6v33100L8copy_matIdPdNS0_7no_maskEEEvNS0_17copymat_directionEiiT0_iilPT_T1_13rocblas_fill_17rocblas_diagonal_.has_dyn_sized_stack, 0
	.set _ZN9rocsolver6v33100L8copy_matIdPdNS0_7no_maskEEEvNS0_17copymat_directionEiiT0_iilPT_T1_13rocblas_fill_17rocblas_diagonal_.has_recursion, 0
	.set _ZN9rocsolver6v33100L8copy_matIdPdNS0_7no_maskEEEvNS0_17copymat_directionEiiT0_iilPT_T1_13rocblas_fill_17rocblas_diagonal_.has_indirect_call, 0
	.section	.AMDGPU.csdata,"",@progbits
; Kernel info:
; codeLenInByte = 504
; TotalNumSgprs: 28
; NumVgprs: 6
; ScratchSize: 0
; MemoryBound: 0
; FloatMode: 240
; IeeeMode: 1
; LDSByteSize: 0 bytes/workgroup (compile time only)
; SGPRBlocks: 3
; VGPRBlocks: 1
; NumSGPRsForWavesPerEU: 28
; NumVGPRsForWavesPerEU: 6
; Occupancy: 10
; WaveLimiterHint : 0
; COMPUTE_PGM_RSRC2:SCRATCH_EN: 0
; COMPUTE_PGM_RSRC2:USER_SGPR: 6
; COMPUTE_PGM_RSRC2:TRAP_HANDLER: 0
; COMPUTE_PGM_RSRC2:TGID_X_EN: 1
; COMPUTE_PGM_RSRC2:TGID_Y_EN: 1
; COMPUTE_PGM_RSRC2:TGID_Z_EN: 1
; COMPUTE_PGM_RSRC2:TIDIG_COMP_CNT: 1
	.section	.text._ZN9rocsolver6v33100L11stedcj_sortIddPdEEviPT0_lT1_iiliPiS6_,"axG",@progbits,_ZN9rocsolver6v33100L11stedcj_sortIddPdEEviPT0_lT1_iiliPiS6_,comdat
	.globl	_ZN9rocsolver6v33100L11stedcj_sortIddPdEEviPT0_lT1_iiliPiS6_ ; -- Begin function _ZN9rocsolver6v33100L11stedcj_sortIddPdEEviPT0_lT1_iiliPiS6_
	.p2align	8
	.type	_ZN9rocsolver6v33100L11stedcj_sortIddPdEEviPT0_lT1_iiliPiS6_,@function
_ZN9rocsolver6v33100L11stedcj_sortIddPdEEviPT0_lT1_iiliPiS6_: ; @_ZN9rocsolver6v33100L11stedcj_sortIddPdEEviPT0_lT1_iiliPiS6_
; %bb.0:
	s_load_dword s33, s[4:5], 0x30
	s_add_u32 flat_scratch_lo, s6, s10
	s_addc_u32 flat_scratch_hi, s7, 0
	s_add_u32 s0, s0, s10
	s_addc_u32 s1, s1, 0
	s_waitcnt lgkmcnt(0)
	s_cmp_ge_i32 s9, s33
	s_mov_b32 s32, 0
	s_cbranch_scc1 .LBB24_70
; %bb.1:
	s_load_dword s62, s[4:5], 0x0
	s_load_dwordx8 s[16:23], s[4:5], 0x8
	s_load_dwordx2 s[26:27], s[4:5], 0x28
	s_load_dwordx4 s[12:15], s[4:5], 0x38
	s_add_u32 s28, s4, 0x48
	s_waitcnt lgkmcnt(0)
	s_mul_hi_i32 s7, s62, s9
	s_mul_i32 s6, s62, s9
	s_addc_u32 s29, s5, 0
	s_lshl_b64 s[6:7], s[6:7], 2
	s_add_u32 s64, s12, s6
	s_addc_u32 s65, s13, s7
	s_cmp_lg_u64 s[20:21], 0
	s_mov_b32 s24, s9
	s_cselect_b64 s[8:9], -1, 0
	s_ashr_i32 s7, s22, 31
	s_mov_b32 s6, s22
	s_lshl_b64 s[6:7], s[6:7], 3
	s_add_u32 s66, s20, s6
	s_addc_u32 s67, s21, s7
	s_cmp_lg_u64 s[14:15], 0
	s_cselect_b64 s[20:21], -1, 0
	s_cmp_eq_u64 s[16:17], 0
	s_load_dword s63, s[4:5], 0x50
	s_cselect_b64 s[34:35], -1, 0
	s_cmp_lg_u64 s[12:13], 0
	s_cselect_b64 s[38:39], -1, 0
	s_min_i32 s10, s62, s23
	v_or3_b32 v3, v1, v2, v0
	s_cmp_gt_i32 s10, 0
	v_cmp_eq_u32_e64 s[6:7], 0, v3
	s_cselect_b64 s[10:11], -1, 0
	v_cndmask_b32_e64 v3, 0, 1, s[8:9]
	s_mov_b64 s[30:31], 0
	s_mov_b32 s37, 0
	s_mov_b32 s68, s23
	v_cndmask_b32_e64 v9, 0, 1, s[38:39]
	s_and_b64 s[40:41], s[10:11], s[38:39]
	v_mov_b32_e32 v4, 0
	v_cmp_ne_u32_e64 s[8:9], 1, v3
                                        ; implicit-def: $sgpr42_sgpr43
                                        ; implicit-def: $sgpr22_sgpr23
                                        ; implicit-def: $sgpr44_sgpr45
                                        ; implicit-def: $sgpr46_sgpr47
	s_branch .LBB24_4
.LBB24_2:                               ;   in Loop: Header=BB24_4 Depth=1
	s_or_b64 exec, exec, s[12:13]
	s_andn2_b64 s[10:11], s[46:47], exec
	s_and_b64 s[12:13], s[48:49], exec
	s_or_b64 s[46:47], s[10:11], s[12:13]
	s_andn2_b64 s[44:45], s[44:45], exec
	s_orn2_b64 s[12:13], s[52:53], exec
.LBB24_3:                               ;   in Loop: Header=BB24_4 Depth=1
	s_or_b64 exec, exec, s[50:51]
	s_and_b64 s[10:11], exec, s[12:13]
	s_or_b64 s[30:31], s[10:11], s[30:31]
	s_andn2_b64 s[10:11], s[22:23], exec
	s_and_b64 s[12:13], s[46:47], exec
	s_or_b64 s[22:23], s[10:11], s[12:13]
	s_andn2_b64 s[10:11], s[42:43], exec
	s_and_b64 s[12:13], s[44:45], exec
	s_or_b64 s[42:43], s[10:11], s[12:13]
	s_andn2_b64 exec, exec, s[30:31]
	s_cbranch_execz .LBB24_66
.LBB24_4:                               ; =>This Loop Header: Depth=1
                                        ;     Child Loop BB24_11 Depth 2
                                        ;     Child Loop BB24_15 Depth 2
                                        ;       Child Loop BB24_18 Depth 3
                                        ;         Child Loop BB24_22 Depth 4
                                        ;     Child Loop BB24_33 Depth 2
                                        ;     Child Loop BB24_47 Depth 2
                                        ;       Child Loop BB24_49 Depth 3
                                        ;         Child Loop BB24_54 Depth 4
                                        ;     Child Loop BB24_58 Depth 2
	s_ashr_i32 s25, s24, 31
	s_and_b64 vcc, exec, s[8:9]
	s_mov_b64 s[48:49], 0
	s_cbranch_vccnz .LBB24_6
; %bb.5:                                ;   in Loop: Header=BB24_4 Depth=1
	s_mul_i32 s10, s26, s25
	s_mul_hi_u32 s11, s26, s24
	s_add_i32 s10, s11, s10
	s_mul_i32 s11, s27, s24
	s_add_i32 s11, s10, s11
	s_mul_i32 s10, s26, s24
	s_lshl_b64 s[10:11], s[10:11], 3
	s_add_u32 s48, s66, s10
	s_addc_u32 s49, s67, s11
.LBB24_6:                               ;   in Loop: Header=BB24_4 Depth=1
	s_andn2_b64 vcc, exec, s[20:21]
	s_mov_b32 s69, s62
	s_cbranch_vccnz .LBB24_8
; %bb.7:                                ;   in Loop: Header=BB24_4 Depth=1
	s_lshl_b64 s[10:11], s[24:25], 2
	s_add_u32 s10, s14, s10
	s_addc_u32 s11, s15, s11
	global_load_dword v3, v4, s[10:11]
	s_waitcnt vmcnt(0)
	v_readfirstlane_b32 s69, v3
.LBB24_8:                               ;   in Loop: Header=BB24_4 Depth=1
	s_cmp_lt_i32 s69, 1
	s_cselect_b64 s[10:11], -1, 0
	s_or_b64 s[10:11], s[34:35], s[10:11]
	s_mov_b64 s[12:13], -1
	s_and_b64 vcc, exec, s[10:11]
	s_mov_b64 s[10:11], -1
	s_waitcnt lgkmcnt(0)
	s_barrier
	s_cbranch_vccnz .LBB24_42
; %bb.9:                                ;   in Loop: Header=BB24_4 Depth=1
	s_load_dwordx2 s[10:11], s[28:29], 0xc
	s_waitcnt lgkmcnt(0)
	s_barrier
	s_lshr_b32 s36, s10, 16
	s_and_b32 s10, s10, 0xffff
	s_mul_i32 s70, s36, s10
	v_mul_lo_u32 v3, s70, v2
	v_mul_u32_u24_e32 v5, s10, v1
	s_and_b32 s11, s11, 0xffff
	s_mul_i32 s70, s70, s11
	v_add3_u32 v10, v5, v0, v3
	v_cmp_gt_u32_e32 vcc, s69, v10
	s_and_b64 s[50:51], s[38:39], vcc
	s_and_saveexec_b64 s[10:11], s[50:51]
	s_cbranch_execz .LBB24_12
; %bb.10:                               ;   in Loop: Header=BB24_4 Depth=1
	s_mov_b64 s[50:51], 0
	v_mov_b32_e32 v3, v10
.LBB24_11:                              ;   Parent Loop BB24_4 Depth=1
                                        ; =>  This Inner Loop Header: Depth=2
	v_lshlrev_b64 v[5:6], 2, v[3:4]
	v_mov_b32_e32 v7, s65
	v_add_co_u32_e32 v5, vcc, s64, v5
	v_addc_co_u32_e32 v6, vcc, v7, v6, vcc
	global_store_dword v[5:6], v3, off
	v_add_u32_e32 v3, s70, v3
	v_cmp_le_u32_e32 vcc, s69, v3
	s_or_b64 s[50:51], vcc, s[50:51]
	s_andn2_b64 exec, exec, s[50:51]
	s_cbranch_execnz .LBB24_11
.LBB24_12:                              ;   in Loop: Header=BB24_4 Depth=1
	s_or_b64 exec, exec, s[10:11]
	s_mul_i32 s10, s18, s25
	s_mul_hi_u32 s11, s18, s24
	s_add_i32 s10, s11, s10
	s_mul_i32 s11, s19, s24
	s_add_i32 s11, s10, s11
	s_mul_i32 s10, s18, s24
	s_lshl_b64 s[10:11], s[10:11], 3
	s_add_u32 s25, s16, s10
	s_addc_u32 s60, s17, s11
	s_waitcnt vmcnt(0)
	s_barrier
	s_and_saveexec_b64 s[50:51], s[6:7]
	s_cbranch_execz .LBB24_29
; %bb.13:                               ;   in Loop: Header=BB24_4 Depth=1
	s_mov_b32 s52, 0
	s_branch .LBB24_15
.LBB24_14:                              ;   in Loop: Header=BB24_15 Depth=2
	s_add_i32 s52, s52, 1
	s_cmp_eq_u32 s52, 8
	s_cbranch_scc1 .LBB24_29
.LBB24_15:                              ;   Parent Loop BB24_4 Depth=1
                                        ; =>  This Loop Header: Depth=2
                                        ;       Child Loop BB24_18 Depth 3
                                        ;         Child Loop BB24_22 Depth 4
	s_mov_b32 s53, s37
	s_lshl_b64 s[10:11], s[52:53], 2
	s_getpc_b64 s[54:55]
	s_add_u32 s54, s54, __const._ZN9rocsolver6v33100L20shell_sort_ascendingIdiEEvT0_PT_PS2_.gaps@rel32@lo+4
	s_addc_u32 s55, s55, __const._ZN9rocsolver6v33100L20shell_sort_ascendingIdiEEvT0_PT_PS2_.gaps@rel32@hi+12
	s_add_u32 s10, s54, s10
	s_addc_u32 s11, s55, s11
	s_load_dword s53, s[10:11], 0x0
	s_waitcnt lgkmcnt(0)
	s_cmp_ge_i32 s53, s69
	s_cbranch_scc1 .LBB24_14
; %bb.16:                               ;   in Loop: Header=BB24_15 Depth=2
	s_mov_b32 s61, 0
	s_mov_b32 s54, s53
	s_branch .LBB24_18
.LBB24_17:                              ;   in Loop: Header=BB24_18 Depth=3
	s_add_i32 s54, s54, 1
	s_add_i32 s61, s61, 1
	s_cmp_ge_i32 s54, s69
	s_cbranch_scc1 .LBB24_14
.LBB24_18:                              ;   Parent Loop BB24_4 Depth=1
                                        ;     Parent Loop BB24_15 Depth=2
                                        ; =>    This Loop Header: Depth=3
                                        ;         Child Loop BB24_22 Depth 4
	s_ashr_i32 s55, s54, 31
	s_lshl_b64 s[10:11], s[54:55], 3
	s_add_u32 s10, s25, s10
	s_addc_u32 s11, s60, s11
	global_load_dwordx2 v[5:6], v4, s[10:11]
	v_cmp_ne_u32_e64 s[10:11], 1, v9
	s_andn2_b64 vcc, exec, s[38:39]
	s_cbranch_vccnz .LBB24_20
; %bb.19:                               ;   in Loop: Header=BB24_18 Depth=3
	s_lshl_b64 s[56:57], s[54:55], 2
	s_add_u32 s56, s64, s56
	s_addc_u32 s57, s65, s57
	global_load_dword v3, v4, s[56:57]
	s_cmp_lt_i32 s54, s53
	s_mov_b64 s[56:57], s[54:55]
	s_mov_b32 s36, s61
	s_cbranch_scc0 .LBB24_22
	s_branch .LBB24_27
.LBB24_20:                              ;   in Loop: Header=BB24_18 Depth=3
	v_mov_b32_e32 v3, 0
	s_cmp_lt_i32 s54, s53
	s_mov_b64 s[56:57], s[54:55]
	s_mov_b32 s36, s61
	s_cbranch_scc0 .LBB24_22
	s_branch .LBB24_27
.LBB24_21:                              ;   in Loop: Header=BB24_22 Depth=4
                                        ; implicit-def: $sgpr55
	s_and_b64 vcc, exec, s[58:59]
	s_mov_b32 s36, s55
	s_cbranch_vccnz .LBB24_26
.LBB24_22:                              ;   Parent Loop BB24_4 Depth=1
                                        ;     Parent Loop BB24_15 Depth=2
                                        ;       Parent Loop BB24_18 Depth=3
                                        ; =>      This Inner Loop Header: Depth=4
	s_add_i32 s56, s53, s36
	s_lshl_b64 s[58:59], s[36:37], 3
	s_add_u32 s58, s25, s58
	s_addc_u32 s59, s60, s59
	global_load_dwordx2 v[7:8], v4, s[58:59]
	s_mov_b64 s[58:59], -1
	s_waitcnt vmcnt(0)
	v_cmp_ngt_f64_e32 vcc, v[7:8], v[5:6]
	s_cbranch_vccnz .LBB24_21
; %bb.23:                               ;   in Loop: Header=BB24_22 Depth=4
	s_ashr_i32 s57, s56, 31
	s_lshl_b64 s[58:59], s[56:57], 3
	s_add_u32 s58, s25, s58
	s_addc_u32 s59, s60, s59
	s_and_b64 vcc, exec, s[10:11]
	global_store_dwordx2 v4, v[7:8], s[58:59]
	s_cbranch_vccnz .LBB24_25
; %bb.24:                               ;   in Loop: Header=BB24_22 Depth=4
	s_lshl_b64 s[56:57], s[56:57], 2
	s_add_u32 s56, s64, s56
	s_addc_u32 s57, s65, s57
	s_lshl_b64 s[58:59], s[36:37], 2
	s_add_u32 s58, s64, s58
	s_addc_u32 s59, s65, s59
	global_load_dword v7, v4, s[58:59]
	s_waitcnt vmcnt(0)
	global_store_dword v4, v7, s[56:57]
.LBB24_25:                              ;   in Loop: Header=BB24_22 Depth=4
	s_sub_i32 s55, s36, s53
	s_cmp_lt_i32 s36, s53
	s_cselect_b64 s[58:59], -1, 0
	s_mov_b32 s56, s36
	s_and_b64 vcc, exec, s[58:59]
	s_mov_b32 s36, s55
	s_cbranch_vccz .LBB24_22
.LBB24_26:                              ;   in Loop: Header=BB24_18 Depth=3
	s_ashr_i32 s57, s56, 31
.LBB24_27:                              ;   in Loop: Header=BB24_18 Depth=3
	s_lshl_b64 s[58:59], s[56:57], 3
	s_add_u32 s58, s25, s58
	s_addc_u32 s59, s60, s59
	s_and_b64 vcc, exec, s[10:11]
	s_waitcnt vmcnt(0)
	global_store_dwordx2 v4, v[5:6], s[58:59]
	s_cbranch_vccnz .LBB24_17
; %bb.28:                               ;   in Loop: Header=BB24_18 Depth=3
	s_lshl_b64 s[10:11], s[56:57], 2
	s_add_u32 s10, s64, s10
	s_addc_u32 s11, s65, s11
	global_store_dword v4, v3, s[10:11]
	s_branch .LBB24_17
.LBB24_29:                              ;   in Loop: Header=BB24_4 Depth=1
	s_or_b64 exec, exec, s[50:51]
	s_cmp_lt_u32 s69, 2
	s_cselect_b64 s[52:53], -1, 0
	s_and_b64 vcc, exec, s[52:53]
	s_waitcnt vmcnt(0)
	s_barrier
	s_cbranch_vccnz .LBB24_39
; %bb.30:                               ;   in Loop: Header=BB24_4 Depth=1
	s_add_i32 s36, s69, -1
	v_cmp_gt_u32_e32 vcc, s36, v10
	s_mov_b64 s[52:53], -1
	s_and_saveexec_b64 s[50:51], vcc
	s_cbranch_execz .LBB24_38
; %bb.31:                               ;   in Loop: Header=BB24_4 Depth=1
	s_mov_b64 s[52:53], 0
	v_mov_b32_e32 v11, s60
	v_mov_b32_e32 v3, v10
                                        ; implicit-def: $sgpr54_sgpr55
	s_branch .LBB24_33
.LBB24_32:                              ;   in Loop: Header=BB24_33 Depth=2
	s_or_b64 exec, exec, s[60:61]
	s_xor_b64 s[56:57], s[58:59], -1
	s_and_b64 s[10:11], exec, s[10:11]
	s_or_b64 s[52:53], s[10:11], s[52:53]
	s_andn2_b64 s[10:11], s[54:55], exec
	s_and_b64 s[54:55], s[56:57], exec
	s_or_b64 s[54:55], s[10:11], s[54:55]
	s_andn2_b64 exec, exec, s[52:53]
	s_cbranch_execz .LBB24_37
.LBB24_33:                              ;   Parent Loop BB24_4 Depth=1
                                        ; =>  This Inner Loop Header: Depth=2
	v_lshlrev_b64 v[5:6], 3, v[3:4]
	v_add_co_u32_e32 v5, vcc, s25, v5
	v_addc_co_u32_e32 v6, vcc, v11, v6, vcc
	global_load_dwordx2 v[7:8], v[5:6], off
	s_waitcnt vmcnt(0)
	v_cmp_u_f64_e64 s[56:57], v[7:8], v[7:8]
	v_cmp_o_f64_e32 vcc, v[7:8], v[7:8]
	s_and_saveexec_b64 s[58:59], vcc
	s_cbranch_execz .LBB24_35
; %bb.34:                               ;   in Loop: Header=BB24_33 Depth=2
	global_load_dwordx2 v[5:6], v[5:6], off offset:8
	s_andn2_b64 s[56:57], s[56:57], exec
	s_waitcnt vmcnt(0)
	v_cmp_u_f64_e32 vcc, v[5:6], v[5:6]
	v_cmp_le_f64_e64 s[10:11], v[7:8], v[5:6]
	s_or_b64 s[10:11], vcc, s[10:11]
	s_and_b64 s[10:11], s[10:11], exec
	s_or_b64 s[56:57], s[56:57], s[10:11]
.LBB24_35:                              ;   in Loop: Header=BB24_33 Depth=2
	s_or_b64 exec, exec, s[58:59]
	s_mov_b64 s[10:11], -1
	s_mov_b64 s[58:59], -1
	s_and_saveexec_b64 s[60:61], s[56:57]
	s_cbranch_execz .LBB24_32
; %bb.36:                               ;   in Loop: Header=BB24_33 Depth=2
	v_add_u32_e32 v3, s70, v3
	v_cmp_le_u32_e32 vcc, s36, v3
	s_xor_b64 s[58:59], exec, -1
	s_orn2_b64 s[10:11], vcc, exec
	s_branch .LBB24_32
.LBB24_37:                              ;   in Loop: Header=BB24_4 Depth=1
	s_or_b64 exec, exec, s[52:53]
	s_orn2_b64 s[52:53], s[54:55], exec
.LBB24_38:                              ;   in Loop: Header=BB24_4 Depth=1
	s_or_b64 exec, exec, s[50:51]
.LBB24_39:                              ;   in Loop: Header=BB24_4 Depth=1
	s_mov_b64 s[10:11], 0
	s_and_saveexec_b64 s[50:51], s[52:53]
	s_cbranch_execz .LBB24_41
; %bb.40:                               ;   in Loop: Header=BB24_4 Depth=1
	s_mov_b64 s[10:11], exec
	s_barrier
.LBB24_41:                              ;   in Loop: Header=BB24_4 Depth=1
	s_or_b64 exec, exec, s[50:51]
.LBB24_42:                              ;   in Loop: Header=BB24_4 Depth=1
	s_andn2_b64 s[46:47], s[46:47], exec
	s_or_b64 s[44:45], s[44:45], exec
	s_and_saveexec_b64 s[50:51], s[10:11]
	s_cbranch_execz .LBB24_3
; %bb.43:                               ;   in Loop: Header=BB24_4 Depth=1
	s_cmp_lg_u64 s[48:49], 0
	s_cselect_b64 s[10:11], -1, 0
	s_and_b64 s[10:11], s[10:11], s[40:41]
	s_mov_b64 s[52:53], -1
	s_and_b64 vcc, exec, s[10:11]
	s_mov_b64 s[10:11], -1
	s_barrier
	s_cbranch_vccz .LBB24_64
; %bb.44:                               ;   in Loop: Header=BB24_4 Depth=1
	s_load_dwordx2 s[10:11], s[28:29], 0xc
	s_waitcnt lgkmcnt(0)
	s_lshr_b32 s12, s10, 16
	s_and_b32 s10, s10, 0xffff
	v_mul_u32_u24_e32 v3, s10, v1
	s_mul_i32 s10, s12, s10
	v_mul_lo_u32 v5, s10, v2
	s_and_b32 s11, s11, 0xffff
	s_cmp_lt_i32 s69, 0
	s_cselect_b32 s25, s62, s69
	s_cmp_eq_u32 s25, 0
	v_add3_u32 v5, v3, v0, v5
	s_mul_i32 s69, s10, s11
	s_cbranch_scc1 .LBB24_55
; %bb.45:                               ;   in Loop: Header=BB24_4 Depth=1
	s_mov_b32 s36, 0
	v_cmp_eq_u32_e64 s[10:11], 0, v5
	v_cmp_gt_u32_e64 s[12:13], s62, v5
	s_branch .LBB24_47
.LBB24_46:                              ;   in Loop: Header=BB24_47 Depth=2
	s_add_i32 s36, s36, 1
	s_cmp_eq_u32 s36, s25
	s_cbranch_scc1 .LBB24_55
.LBB24_47:                              ;   Parent Loop BB24_4 Depth=1
                                        ; =>  This Loop Header: Depth=2
                                        ;       Child Loop BB24_49 Depth 3
                                        ;         Child Loop BB24_54 Depth 4
	s_lshl_b64 s[54:55], s[36:37], 2
	s_add_u32 s54, s64, s54
	s_addc_u32 s55, s65, s55
	s_barrier
	s_branch .LBB24_49
.LBB24_48:                              ;   in Loop: Header=BB24_49 Depth=3
	s_or_b64 exec, exec, s[56:57]
	s_waitcnt vmcnt(0)
	s_barrier
.LBB24_49:                              ;   Parent Loop BB24_4 Depth=1
                                        ;     Parent Loop BB24_47 Depth=2
                                        ; =>    This Loop Header: Depth=3
                                        ;         Child Loop BB24_54 Depth 4
	global_load_dword v3, v4, s[54:55]
	s_waitcnt vmcnt(0)
	v_cmp_eq_u32_e32 vcc, s36, v3
	v_readfirstlane_b32 s58, v3
	s_cbranch_vccnz .LBB24_46
; %bb.50:                               ;   in Loop: Header=BB24_49 Depth=3
	s_ashr_i32 s59, s58, 31
	s_lshl_b64 s[56:57], s[58:59], 2
	s_add_u32 s56, s64, s56
	s_addc_u32 s57, s65, s57
	global_load_dword v3, v4, s[56:57]
	s_waitcnt vmcnt(0)
	s_barrier
	v_readfirstlane_b32 s70, v3
	s_and_saveexec_b64 s[60:61], s[10:11]
	s_cbranch_execz .LBB24_52
; %bb.51:                               ;   in Loop: Header=BB24_49 Depth=3
	v_mov_b32_e32 v3, s58
	global_store_dword v4, v3, s[56:57]
	v_mov_b32_e32 v3, s70
	global_store_dword v4, v3, s[54:55]
.LBB24_52:                              ;   in Loop: Header=BB24_49 Depth=3
	s_or_b64 exec, exec, s[60:61]
	s_waitcnt vmcnt(0)
	s_barrier
	s_and_saveexec_b64 s[56:57], s[12:13]
	s_cbranch_execz .LBB24_48
; %bb.53:                               ;   in Loop: Header=BB24_49 Depth=3
	s_mul_i32 s59, s59, s68
	s_mul_hi_u32 s60, s58, s68
	s_add_i32 s59, s60, s59
	s_ashr_i32 s60, s70, 31
	s_mul_i32 s58, s58, s68
	s_mul_hi_u32 s61, s70, s68
	s_mul_i32 s60, s60, s68
	s_add_i32 s71, s61, s60
	s_lshl_b64 s[58:59], s[58:59], 3
	s_mul_i32 s70, s70, s68
	s_add_u32 s60, s48, s58
	s_addc_u32 s61, s49, s59
	s_lshl_b64 s[58:59], s[70:71], 3
	s_add_u32 s70, s48, s58
	s_addc_u32 s71, s49, s59
	s_mov_b64 s[58:59], 0
	v_mov_b32_e32 v3, v5
.LBB24_54:                              ;   Parent Loop BB24_4 Depth=1
                                        ;     Parent Loop BB24_47 Depth=2
                                        ;       Parent Loop BB24_49 Depth=3
                                        ; =>      This Inner Loop Header: Depth=4
	v_lshlrev_b64 v[6:7], 3, v[3:4]
	v_mov_b32_e32 v8, s61
	v_add_co_u32_e32 v10, vcc, s60, v6
	v_addc_co_u32_e32 v11, vcc, v8, v7, vcc
	v_mov_b32_e32 v12, s71
	v_add_co_u32_e32 v6, vcc, s70, v6
	v_addc_co_u32_e32 v7, vcc, v12, v7, vcc
	global_load_dwordx2 v[12:13], v[6:7], off
	global_load_dwordx2 v[14:15], v[10:11], off
	v_add_u32_e32 v3, s69, v3
	v_cmp_le_u32_e32 vcc, s62, v3
	s_or_b64 s[58:59], vcc, s[58:59]
	s_waitcnt vmcnt(1)
	global_store_dwordx2 v[10:11], v[12:13], off
	s_waitcnt vmcnt(1)
	global_store_dwordx2 v[6:7], v[14:15], off
	s_andn2_b64 exec, exec, s[58:59]
	s_cbranch_execnz .LBB24_54
	s_branch .LBB24_48
.LBB24_55:                              ;   in Loop: Header=BB24_4 Depth=1
	v_cmp_gt_u32_e32 vcc, s25, v5
	s_mov_b64 s[12:13], -1
	s_barrier
	s_and_saveexec_b64 s[10:11], vcc
	s_cbranch_execz .LBB24_61
; %bb.56:                               ;   in Loop: Header=BB24_4 Depth=1
	s_mov_b64 s[12:13], 0
	v_mov_b32_e32 v3, v5
                                        ; implicit-def: $sgpr48_sgpr49
                                        ; implicit-def: $sgpr56_sgpr57
                                        ; implicit-def: $sgpr54_sgpr55
	s_branch .LBB24_58
.LBB24_57:                              ;   in Loop: Header=BB24_58 Depth=2
	s_or_b64 exec, exec, s[58:59]
	s_xor_b64 s[58:59], s[54:55], -1
	s_and_b64 s[60:61], exec, s[56:57]
	s_or_b64 s[12:13], s[60:61], s[12:13]
	s_andn2_b64 s[48:49], s[48:49], exec
	s_and_b64 s[58:59], s[58:59], exec
	s_or_b64 s[48:49], s[48:49], s[58:59]
	s_andn2_b64 exec, exec, s[12:13]
	s_cbranch_execz .LBB24_60
.LBB24_58:                              ;   Parent Loop BB24_4 Depth=1
                                        ; =>  This Inner Loop Header: Depth=2
	v_lshlrev_b64 v[5:6], 2, v[3:4]
	v_mov_b32_e32 v7, s65
	v_add_co_u32_e32 v5, vcc, s64, v5
	v_addc_co_u32_e32 v6, vcc, v7, v6, vcc
	global_load_dword v5, v[5:6], off
	s_or_b64 s[54:55], s[54:55], exec
	s_or_b64 s[56:57], s[56:57], exec
	s_waitcnt vmcnt(0)
	v_cmp_eq_u32_e32 vcc, v3, v5
	s_and_saveexec_b64 s[58:59], vcc
	s_cbranch_execz .LBB24_57
; %bb.59:                               ;   in Loop: Header=BB24_58 Depth=2
	v_add_u32_e32 v3, s69, v3
	v_cmp_le_u32_e32 vcc, s25, v3
	s_andn2_b64 s[56:57], s[56:57], exec
	s_and_b64 s[60:61], vcc, exec
	s_andn2_b64 s[54:55], s[54:55], exec
	s_or_b64 s[56:57], s[56:57], s[60:61]
	s_branch .LBB24_57
.LBB24_60:                              ;   in Loop: Header=BB24_4 Depth=1
	s_or_b64 exec, exec, s[12:13]
	s_orn2_b64 s[12:13], s[48:49], exec
.LBB24_61:                              ;   in Loop: Header=BB24_4 Depth=1
	s_or_b64 exec, exec, s[10:11]
	s_mov_b64 s[10:11], 0
	s_and_saveexec_b64 s[48:49], s[12:13]
	s_cbranch_execz .LBB24_63
; %bb.62:                               ;   in Loop: Header=BB24_4 Depth=1
	s_mov_b64 s[10:11], exec
	s_barrier
.LBB24_63:                              ;   in Loop: Header=BB24_4 Depth=1
	s_or_b64 exec, exec, s[48:49]
.LBB24_64:                              ;   in Loop: Header=BB24_4 Depth=1
	s_mov_b64 s[48:49], -1
	s_and_saveexec_b64 s[12:13], s[10:11]
	s_cbranch_execz .LBB24_2
; %bb.65:                               ;   in Loop: Header=BB24_4 Depth=1
	s_add_i32 s24, s24, s63
	s_cmp_ge_i32 s24, s33
	s_cselect_b64 s[10:11], -1, 0
	s_xor_b64 s[48:49], exec, -1
	s_orn2_b64 s[52:53], s[10:11], exec
	s_barrier
	s_branch .LBB24_2
.LBB24_66:
	s_or_b64 exec, exec, s[30:31]
	s_xor_b64 s[6:7], s[42:43], -1
	s_mov_b64 s[26:27], 0
	s_and_saveexec_b64 s[8:9], s[6:7]
	s_xor_b64 s[28:29], exec, s[8:9]
	s_cbranch_execnz .LBB24_71
; %bb.67:
	s_andn2_saveexec_b64 s[28:29], s[28:29]
	s_cbranch_execnz .LBB24_74
.LBB24_68:
	s_or_b64 exec, exec, s[28:29]
	s_and_saveexec_b64 s[4:5], s[26:27]
.LBB24_69:
	; divergent unreachable
.LBB24_70:
	s_endpgm
.LBB24_71:
	s_mov_b64 s[6:7], 0
	s_and_saveexec_b64 s[8:9], s[22:23]
	s_xor_b64 s[26:27], exec, s[8:9]
	s_cbranch_execz .LBB24_73
; %bb.72:
	s_add_u32 s8, s4, 0x48
	s_addc_u32 s9, s5, 0
	s_getpc_b64 s[6:7]
	s_add_u32 s6, s6, .str.8@rel32@lo+4
	s_addc_u32 s7, s7, .str.8@rel32@hi+12
	s_getpc_b64 s[10:11]
	s_add_u32 s10, s10, __PRETTY_FUNCTION__._ZN9rocsolver6v33100L12permute_swapIdiEEvT0_PT_S2_PS2_S2_@rel32@lo+4
	s_addc_u32 s11, s11, __PRETTY_FUNCTION__._ZN9rocsolver6v33100L12permute_swapIdiEEvT0_PT_S2_PS2_S2_@rel32@hi+12
	s_getpc_b64 s[12:13]
	s_add_u32 s12, s12, __assert_fail@rel32@lo+4
	s_addc_u32 s13, s13, __assert_fail@rel32@hi+12
	v_mov_b32_e32 v0, s6
	v_mov_b32_e32 v1, s7
	;; [unrolled: 1-line block ×5, first 2 shown]
	s_mov_b64 s[34:35], s[4:5]
	s_swappc_b64 s[30:31], s[12:13]
	s_mov_b64 s[4:5], s[34:35]
	s_mov_b64 s[6:7], exec
.LBB24_73:
	s_or_b64 exec, exec, s[26:27]
	s_and_b64 s[26:27], s[6:7], exec
	s_andn2_saveexec_b64 s[28:29], s[28:29]
	s_cbranch_execz .LBB24_68
.LBB24_74:
	s_add_u32 s8, s4, 0x48
	s_addc_u32 s9, s5, 0
	s_getpc_b64 s[4:5]
	s_add_u32 s4, s4, .str.5@rel32@lo+4
	s_addc_u32 s5, s5, .str.5@rel32@hi+12
	s_getpc_b64 s[6:7]
	s_add_u32 s6, s6, __PRETTY_FUNCTION__._ZN9rocsolver6v33100L20shell_sort_ascendingIdiEEvT0_PT_PS2_@rel32@lo+4
	s_addc_u32 s7, s7, __PRETTY_FUNCTION__._ZN9rocsolver6v33100L20shell_sort_ascendingIdiEEvT0_PT_PS2_@rel32@hi+12
	s_getpc_b64 s[10:11]
	s_add_u32 s10, s10, __assert_fail@rel32@lo+4
	s_addc_u32 s11, s11, __assert_fail@rel32@hi+12
	v_mov_b32_e32 v0, s4
	v_mov_b32_e32 v1, s5
	v_mov_b32_e32 v2, 0xea
	v_mov_b32_e32 v3, s6
	v_mov_b32_e32 v4, s7
	s_swappc_b64 s[30:31], s[10:11]
	s_or_b64 s[26:27], s[26:27], exec
	s_or_b64 exec, exec, s[28:29]
	s_and_saveexec_b64 s[4:5], s[26:27]
	s_cbranch_execnz .LBB24_69
	s_branch .LBB24_70
	.section	.rodata,"a",@progbits
	.p2align	6, 0x0
	.amdhsa_kernel _ZN9rocsolver6v33100L11stedcj_sortIddPdEEviPT0_lT1_iiliPiS6_
		.amdhsa_group_segment_fixed_size 0
		.amdhsa_private_segment_fixed_size 64
		.amdhsa_kernarg_size 328
		.amdhsa_user_sgpr_count 8
		.amdhsa_user_sgpr_private_segment_buffer 1
		.amdhsa_user_sgpr_dispatch_ptr 0
		.amdhsa_user_sgpr_queue_ptr 0
		.amdhsa_user_sgpr_kernarg_segment_ptr 1
		.amdhsa_user_sgpr_dispatch_id 0
		.amdhsa_user_sgpr_flat_scratch_init 1
		.amdhsa_user_sgpr_private_segment_size 0
		.amdhsa_uses_dynamic_stack 0
		.amdhsa_system_sgpr_private_segment_wavefront_offset 1
		.amdhsa_system_sgpr_workgroup_id_x 1
		.amdhsa_system_sgpr_workgroup_id_y 0
		.amdhsa_system_sgpr_workgroup_id_z 1
		.amdhsa_system_sgpr_workgroup_info 0
		.amdhsa_system_vgpr_workitem_id 2
		.amdhsa_next_free_vgpr 51
		.amdhsa_next_free_sgpr 72
		.amdhsa_reserve_vcc 1
		.amdhsa_reserve_flat_scratch 1
		.amdhsa_float_round_mode_32 0
		.amdhsa_float_round_mode_16_64 0
		.amdhsa_float_denorm_mode_32 3
		.amdhsa_float_denorm_mode_16_64 3
		.amdhsa_dx10_clamp 1
		.amdhsa_ieee_mode 1
		.amdhsa_fp16_overflow 0
		.amdhsa_exception_fp_ieee_invalid_op 0
		.amdhsa_exception_fp_denorm_src 0
		.amdhsa_exception_fp_ieee_div_zero 0
		.amdhsa_exception_fp_ieee_overflow 0
		.amdhsa_exception_fp_ieee_underflow 0
		.amdhsa_exception_fp_ieee_inexact 0
		.amdhsa_exception_int_div_zero 0
	.end_amdhsa_kernel
	.section	.text._ZN9rocsolver6v33100L11stedcj_sortIddPdEEviPT0_lT1_iiliPiS6_,"axG",@progbits,_ZN9rocsolver6v33100L11stedcj_sortIddPdEEviPT0_lT1_iiliPiS6_,comdat
.Lfunc_end24:
	.size	_ZN9rocsolver6v33100L11stedcj_sortIddPdEEviPT0_lT1_iiliPiS6_, .Lfunc_end24-_ZN9rocsolver6v33100L11stedcj_sortIddPdEEviPT0_lT1_iiliPiS6_
                                        ; -- End function
	.set _ZN9rocsolver6v33100L11stedcj_sortIddPdEEviPT0_lT1_iiliPiS6_.num_vgpr, max(16, .L__assert_fail.num_vgpr)
	.set _ZN9rocsolver6v33100L11stedcj_sortIddPdEEviPT0_lT1_iiliPiS6_.num_agpr, max(0, .L__assert_fail.num_agpr)
	.set _ZN9rocsolver6v33100L11stedcj_sortIddPdEEviPT0_lT1_iiliPiS6_.numbered_sgpr, max(72, .L__assert_fail.numbered_sgpr)
	.set _ZN9rocsolver6v33100L11stedcj_sortIddPdEEviPT0_lT1_iiliPiS6_.num_named_barrier, max(0, .L__assert_fail.num_named_barrier)
	.set _ZN9rocsolver6v33100L11stedcj_sortIddPdEEviPT0_lT1_iiliPiS6_.private_seg_size, 0+max(.L__assert_fail.private_seg_size)
	.set _ZN9rocsolver6v33100L11stedcj_sortIddPdEEviPT0_lT1_iiliPiS6_.uses_vcc, or(1, .L__assert_fail.uses_vcc)
	.set _ZN9rocsolver6v33100L11stedcj_sortIddPdEEviPT0_lT1_iiliPiS6_.uses_flat_scratch, or(1, .L__assert_fail.uses_flat_scratch)
	.set _ZN9rocsolver6v33100L11stedcj_sortIddPdEEviPT0_lT1_iiliPiS6_.has_dyn_sized_stack, or(0, .L__assert_fail.has_dyn_sized_stack)
	.set _ZN9rocsolver6v33100L11stedcj_sortIddPdEEviPT0_lT1_iiliPiS6_.has_recursion, or(0, .L__assert_fail.has_recursion)
	.set _ZN9rocsolver6v33100L11stedcj_sortIddPdEEviPT0_lT1_iiliPiS6_.has_indirect_call, or(0, .L__assert_fail.has_indirect_call)
	.section	.AMDGPU.csdata,"",@progbits
; Kernel info:
; codeLenInByte = 2324
; TotalNumSgprs: 78
; NumVgprs: 51
; ScratchSize: 64
; MemoryBound: 0
; FloatMode: 240
; IeeeMode: 1
; LDSByteSize: 0 bytes/workgroup (compile time only)
; SGPRBlocks: 9
; VGPRBlocks: 12
; NumSGPRsForWavesPerEU: 78
; NumVGPRsForWavesPerEU: 51
; Occupancy: 4
; WaveLimiterHint : 1
; COMPUTE_PGM_RSRC2:SCRATCH_EN: 1
; COMPUTE_PGM_RSRC2:USER_SGPR: 8
; COMPUTE_PGM_RSRC2:TRAP_HANDLER: 0
; COMPUTE_PGM_RSRC2:TGID_X_EN: 1
; COMPUTE_PGM_RSRC2:TGID_Y_EN: 0
; COMPUTE_PGM_RSRC2:TGID_Z_EN: 1
; COMPUTE_PGM_RSRC2:TIDIG_COMP_CNT: 2
	.section	.text._ZN9rocsolver6v33100L16reset_batch_infoI19rocblas_complex_numIfEiiPS3_EEvT2_lT0_T1_,"axG",@progbits,_ZN9rocsolver6v33100L16reset_batch_infoI19rocblas_complex_numIfEiiPS3_EEvT2_lT0_T1_,comdat
	.globl	_ZN9rocsolver6v33100L16reset_batch_infoI19rocblas_complex_numIfEiiPS3_EEvT2_lT0_T1_ ; -- Begin function _ZN9rocsolver6v33100L16reset_batch_infoI19rocblas_complex_numIfEiiPS3_EEvT2_lT0_T1_
	.p2align	8
	.type	_ZN9rocsolver6v33100L16reset_batch_infoI19rocblas_complex_numIfEiiPS3_EEvT2_lT0_T1_,@function
_ZN9rocsolver6v33100L16reset_batch_infoI19rocblas_complex_numIfEiiPS3_EEvT2_lT0_T1_: ; @_ZN9rocsolver6v33100L16reset_batch_infoI19rocblas_complex_numIfEiiPS3_EEvT2_lT0_T1_
; %bb.0:
	s_load_dword s2, s[4:5], 0x24
	s_load_dwordx2 s[0:1], s[4:5], 0x10
	s_waitcnt lgkmcnt(0)
	s_and_b32 s2, s2, 0xffff
	s_mul_i32 s6, s6, s2
	v_add_u32_e32 v0, s6, v0
	v_cmp_gt_i32_e32 vcc, s0, v0
	s_and_saveexec_b64 s[2:3], vcc
	s_cbranch_execz .LBB25_2
; %bb.1:
	s_load_dwordx4 s[8:11], s[4:5], 0x0
	s_ashr_i32 s0, s7, 31
	v_ashrrev_i32_e32 v1, 31, v0
	v_lshlrev_b64 v[0:1], 3, v[0:1]
	v_cvt_f32_i32_e32 v2, s1
	s_waitcnt lgkmcnt(0)
	s_mul_hi_u32 s3, s10, s7
	s_mul_i32 s0, s10, s0
	s_mul_i32 s4, s11, s7
	s_add_i32 s0, s3, s0
	s_mul_i32 s2, s10, s7
	s_add_i32 s3, s0, s4
	s_lshl_b64 s[2:3], s[2:3], 3
	s_add_u32 s0, s8, s2
	s_addc_u32 s2, s9, s3
	v_mov_b32_e32 v3, s2
	v_add_co_u32_e32 v0, vcc, s0, v0
	v_addc_co_u32_e32 v1, vcc, v3, v1, vcc
	v_mov_b32_e32 v3, 0
	global_store_dwordx2 v[0:1], v[2:3], off
.LBB25_2:
	s_endpgm
	.section	.rodata,"a",@progbits
	.p2align	6, 0x0
	.amdhsa_kernel _ZN9rocsolver6v33100L16reset_batch_infoI19rocblas_complex_numIfEiiPS3_EEvT2_lT0_T1_
		.amdhsa_group_segment_fixed_size 0
		.amdhsa_private_segment_fixed_size 0
		.amdhsa_kernarg_size 280
		.amdhsa_user_sgpr_count 6
		.amdhsa_user_sgpr_private_segment_buffer 1
		.amdhsa_user_sgpr_dispatch_ptr 0
		.amdhsa_user_sgpr_queue_ptr 0
		.amdhsa_user_sgpr_kernarg_segment_ptr 1
		.amdhsa_user_sgpr_dispatch_id 0
		.amdhsa_user_sgpr_flat_scratch_init 0
		.amdhsa_user_sgpr_private_segment_size 0
		.amdhsa_uses_dynamic_stack 0
		.amdhsa_system_sgpr_private_segment_wavefront_offset 0
		.amdhsa_system_sgpr_workgroup_id_x 1
		.amdhsa_system_sgpr_workgroup_id_y 1
		.amdhsa_system_sgpr_workgroup_id_z 0
		.amdhsa_system_sgpr_workgroup_info 0
		.amdhsa_system_vgpr_workitem_id 0
		.amdhsa_next_free_vgpr 4
		.amdhsa_next_free_sgpr 12
		.amdhsa_reserve_vcc 1
		.amdhsa_reserve_flat_scratch 0
		.amdhsa_float_round_mode_32 0
		.amdhsa_float_round_mode_16_64 0
		.amdhsa_float_denorm_mode_32 3
		.amdhsa_float_denorm_mode_16_64 3
		.amdhsa_dx10_clamp 1
		.amdhsa_ieee_mode 1
		.amdhsa_fp16_overflow 0
		.amdhsa_exception_fp_ieee_invalid_op 0
		.amdhsa_exception_fp_denorm_src 0
		.amdhsa_exception_fp_ieee_div_zero 0
		.amdhsa_exception_fp_ieee_overflow 0
		.amdhsa_exception_fp_ieee_underflow 0
		.amdhsa_exception_fp_ieee_inexact 0
		.amdhsa_exception_int_div_zero 0
	.end_amdhsa_kernel
	.section	.text._ZN9rocsolver6v33100L16reset_batch_infoI19rocblas_complex_numIfEiiPS3_EEvT2_lT0_T1_,"axG",@progbits,_ZN9rocsolver6v33100L16reset_batch_infoI19rocblas_complex_numIfEiiPS3_EEvT2_lT0_T1_,comdat
.Lfunc_end25:
	.size	_ZN9rocsolver6v33100L16reset_batch_infoI19rocblas_complex_numIfEiiPS3_EEvT2_lT0_T1_, .Lfunc_end25-_ZN9rocsolver6v33100L16reset_batch_infoI19rocblas_complex_numIfEiiPS3_EEvT2_lT0_T1_
                                        ; -- End function
	.set _ZN9rocsolver6v33100L16reset_batch_infoI19rocblas_complex_numIfEiiPS3_EEvT2_lT0_T1_.num_vgpr, 4
	.set _ZN9rocsolver6v33100L16reset_batch_infoI19rocblas_complex_numIfEiiPS3_EEvT2_lT0_T1_.num_agpr, 0
	.set _ZN9rocsolver6v33100L16reset_batch_infoI19rocblas_complex_numIfEiiPS3_EEvT2_lT0_T1_.numbered_sgpr, 12
	.set _ZN9rocsolver6v33100L16reset_batch_infoI19rocblas_complex_numIfEiiPS3_EEvT2_lT0_T1_.num_named_barrier, 0
	.set _ZN9rocsolver6v33100L16reset_batch_infoI19rocblas_complex_numIfEiiPS3_EEvT2_lT0_T1_.private_seg_size, 0
	.set _ZN9rocsolver6v33100L16reset_batch_infoI19rocblas_complex_numIfEiiPS3_EEvT2_lT0_T1_.uses_vcc, 1
	.set _ZN9rocsolver6v33100L16reset_batch_infoI19rocblas_complex_numIfEiiPS3_EEvT2_lT0_T1_.uses_flat_scratch, 0
	.set _ZN9rocsolver6v33100L16reset_batch_infoI19rocblas_complex_numIfEiiPS3_EEvT2_lT0_T1_.has_dyn_sized_stack, 0
	.set _ZN9rocsolver6v33100L16reset_batch_infoI19rocblas_complex_numIfEiiPS3_EEvT2_lT0_T1_.has_recursion, 0
	.set _ZN9rocsolver6v33100L16reset_batch_infoI19rocblas_complex_numIfEiiPS3_EEvT2_lT0_T1_.has_indirect_call, 0
	.section	.AMDGPU.csdata,"",@progbits
; Kernel info:
; codeLenInByte = 144
; TotalNumSgprs: 16
; NumVgprs: 4
; ScratchSize: 0
; MemoryBound: 0
; FloatMode: 240
; IeeeMode: 1
; LDSByteSize: 0 bytes/workgroup (compile time only)
; SGPRBlocks: 1
; VGPRBlocks: 0
; NumSGPRsForWavesPerEU: 16
; NumVGPRsForWavesPerEU: 4
; Occupancy: 10
; WaveLimiterHint : 0
; COMPUTE_PGM_RSRC2:SCRATCH_EN: 0
; COMPUTE_PGM_RSRC2:USER_SGPR: 6
; COMPUTE_PGM_RSRC2:TRAP_HANDLER: 0
; COMPUTE_PGM_RSRC2:TGID_X_EN: 1
; COMPUTE_PGM_RSRC2:TGID_Y_EN: 1
; COMPUTE_PGM_RSRC2:TGID_Z_EN: 0
; COMPUTE_PGM_RSRC2:TIDIG_COMP_CNT: 0
	.section	.text._ZN9rocsolver6v33100L10init_identI19rocblas_complex_numIfEPS3_EEviiT0_iil,"axG",@progbits,_ZN9rocsolver6v33100L10init_identI19rocblas_complex_numIfEPS3_EEviiT0_iil,comdat
	.globl	_ZN9rocsolver6v33100L10init_identI19rocblas_complex_numIfEPS3_EEviiT0_iil ; -- Begin function _ZN9rocsolver6v33100L10init_identI19rocblas_complex_numIfEPS3_EEviiT0_iil
	.p2align	8
	.type	_ZN9rocsolver6v33100L10init_identI19rocblas_complex_numIfEPS3_EEviiT0_iil,@function
_ZN9rocsolver6v33100L10init_identI19rocblas_complex_numIfEPS3_EEviiT0_iil: ; @_ZN9rocsolver6v33100L10init_identI19rocblas_complex_numIfEPS3_EEviiT0_iil
; %bb.0:
	s_load_dword s2, s[4:5], 0x2c
	s_load_dwordx2 s[0:1], s[4:5], 0x0
	s_waitcnt lgkmcnt(0)
	s_lshr_b32 s3, s2, 16
	s_and_b32 s2, s2, 0xffff
	s_mul_i32 s6, s6, s2
	s_mul_i32 s7, s7, s3
	v_add_u32_e32 v3, s6, v0
	v_add_u32_e32 v1, s7, v1
	v_cmp_gt_u32_e32 vcc, s0, v3
	v_cmp_gt_u32_e64 s[0:1], s1, v1
	s_and_b64 s[0:1], vcc, s[0:1]
	s_and_saveexec_b64 s[2:3], s[0:1]
	s_cbranch_execz .LBB26_6
; %bb.1:
	s_load_dwordx2 s[0:1], s[4:5], 0x10
	v_cmp_ne_u32_e32 vcc, v3, v1
                                        ; implicit-def: $vgpr0
	s_and_saveexec_b64 s[2:3], vcc
	s_xor_b64 s[2:3], exec, s[2:3]
	s_cbranch_execz .LBB26_3
; %bb.2:
	s_waitcnt lgkmcnt(0)
	v_mad_u64_u32 v[0:1], s[6:7], v1, s1, v[3:4]
                                        ; implicit-def: $vgpr3
.LBB26_3:
	s_or_saveexec_b64 s[2:3], s[2:3]
	v_mov_b32_e32 v1, 0
	v_mov_b32_e32 v2, 0
	s_xor_b64 exec, exec, s[2:3]
	s_cbranch_execz .LBB26_5
; %bb.4:
	s_waitcnt lgkmcnt(0)
	v_mad_u64_u32 v[3:4], s[6:7], v3, s1, v[3:4]
	v_mov_b32_e32 v2, 1.0
	v_mov_b32_e32 v0, v3
.LBB26_5:
	s_or_b64 exec, exec, s[2:3]
	s_load_dwordx2 s[2:3], s[4:5], 0x18
	s_load_dwordx2 s[6:7], s[4:5], 0x8
	s_waitcnt lgkmcnt(0)
	s_ashr_i32 s1, s0, 31
	v_lshlrev_b64 v[3:4], 3, v[0:1]
	s_mul_i32 s3, s3, s8
	s_mul_hi_u32 s4, s2, s8
	s_mul_i32 s2, s2, s8
	s_add_i32 s3, s4, s3
	s_lshl_b64 s[2:3], s[2:3], 3
	s_add_u32 s2, s6, s2
	s_addc_u32 s3, s7, s3
	s_lshl_b64 s[0:1], s[0:1], 3
	s_add_u32 s0, s2, s0
	s_addc_u32 s1, s3, s1
	v_mov_b32_e32 v0, s1
	v_add_co_u32_e32 v5, vcc, s0, v3
	v_addc_co_u32_e32 v6, vcc, v0, v4, vcc
	v_mov_b32_e32 v3, v1
	global_store_dwordx2 v[5:6], v[2:3], off
.LBB26_6:
	s_endpgm
	.section	.rodata,"a",@progbits
	.p2align	6, 0x0
	.amdhsa_kernel _ZN9rocsolver6v33100L10init_identI19rocblas_complex_numIfEPS3_EEviiT0_iil
		.amdhsa_group_segment_fixed_size 0
		.amdhsa_private_segment_fixed_size 0
		.amdhsa_kernarg_size 288
		.amdhsa_user_sgpr_count 6
		.amdhsa_user_sgpr_private_segment_buffer 1
		.amdhsa_user_sgpr_dispatch_ptr 0
		.amdhsa_user_sgpr_queue_ptr 0
		.amdhsa_user_sgpr_kernarg_segment_ptr 1
		.amdhsa_user_sgpr_dispatch_id 0
		.amdhsa_user_sgpr_flat_scratch_init 0
		.amdhsa_user_sgpr_private_segment_size 0
		.amdhsa_uses_dynamic_stack 0
		.amdhsa_system_sgpr_private_segment_wavefront_offset 0
		.amdhsa_system_sgpr_workgroup_id_x 1
		.amdhsa_system_sgpr_workgroup_id_y 1
		.amdhsa_system_sgpr_workgroup_id_z 1
		.amdhsa_system_sgpr_workgroup_info 0
		.amdhsa_system_vgpr_workitem_id 1
		.amdhsa_next_free_vgpr 7
		.amdhsa_next_free_sgpr 9
		.amdhsa_reserve_vcc 1
		.amdhsa_reserve_flat_scratch 0
		.amdhsa_float_round_mode_32 0
		.amdhsa_float_round_mode_16_64 0
		.amdhsa_float_denorm_mode_32 3
		.amdhsa_float_denorm_mode_16_64 3
		.amdhsa_dx10_clamp 1
		.amdhsa_ieee_mode 1
		.amdhsa_fp16_overflow 0
		.amdhsa_exception_fp_ieee_invalid_op 0
		.amdhsa_exception_fp_denorm_src 0
		.amdhsa_exception_fp_ieee_div_zero 0
		.amdhsa_exception_fp_ieee_overflow 0
		.amdhsa_exception_fp_ieee_underflow 0
		.amdhsa_exception_fp_ieee_inexact 0
		.amdhsa_exception_int_div_zero 0
	.end_amdhsa_kernel
	.section	.text._ZN9rocsolver6v33100L10init_identI19rocblas_complex_numIfEPS3_EEviiT0_iil,"axG",@progbits,_ZN9rocsolver6v33100L10init_identI19rocblas_complex_numIfEPS3_EEviiT0_iil,comdat
.Lfunc_end26:
	.size	_ZN9rocsolver6v33100L10init_identI19rocblas_complex_numIfEPS3_EEviiT0_iil, .Lfunc_end26-_ZN9rocsolver6v33100L10init_identI19rocblas_complex_numIfEPS3_EEviiT0_iil
                                        ; -- End function
	.set _ZN9rocsolver6v33100L10init_identI19rocblas_complex_numIfEPS3_EEviiT0_iil.num_vgpr, 7
	.set _ZN9rocsolver6v33100L10init_identI19rocblas_complex_numIfEPS3_EEviiT0_iil.num_agpr, 0
	.set _ZN9rocsolver6v33100L10init_identI19rocblas_complex_numIfEPS3_EEviiT0_iil.numbered_sgpr, 9
	.set _ZN9rocsolver6v33100L10init_identI19rocblas_complex_numIfEPS3_EEviiT0_iil.num_named_barrier, 0
	.set _ZN9rocsolver6v33100L10init_identI19rocblas_complex_numIfEPS3_EEviiT0_iil.private_seg_size, 0
	.set _ZN9rocsolver6v33100L10init_identI19rocblas_complex_numIfEPS3_EEviiT0_iil.uses_vcc, 1
	.set _ZN9rocsolver6v33100L10init_identI19rocblas_complex_numIfEPS3_EEviiT0_iil.uses_flat_scratch, 0
	.set _ZN9rocsolver6v33100L10init_identI19rocblas_complex_numIfEPS3_EEviiT0_iil.has_dyn_sized_stack, 0
	.set _ZN9rocsolver6v33100L10init_identI19rocblas_complex_numIfEPS3_EEviiT0_iil.has_recursion, 0
	.set _ZN9rocsolver6v33100L10init_identI19rocblas_complex_numIfEPS3_EEviiT0_iil.has_indirect_call, 0
	.section	.AMDGPU.csdata,"",@progbits
; Kernel info:
; codeLenInByte = 252
; TotalNumSgprs: 13
; NumVgprs: 7
; ScratchSize: 0
; MemoryBound: 0
; FloatMode: 240
; IeeeMode: 1
; LDSByteSize: 0 bytes/workgroup (compile time only)
; SGPRBlocks: 1
; VGPRBlocks: 1
; NumSGPRsForWavesPerEU: 13
; NumVGPRsForWavesPerEU: 7
; Occupancy: 10
; WaveLimiterHint : 0
; COMPUTE_PGM_RSRC2:SCRATCH_EN: 0
; COMPUTE_PGM_RSRC2:USER_SGPR: 6
; COMPUTE_PGM_RSRC2:TRAP_HANDLER: 0
; COMPUTE_PGM_RSRC2:TGID_X_EN: 1
; COMPUTE_PGM_RSRC2:TGID_Y_EN: 1
; COMPUTE_PGM_RSRC2:TGID_Z_EN: 1
; COMPUTE_PGM_RSRC2:TIDIG_COMP_CNT: 1
	.section	.text._ZN9rocsolver6v33100L8copy_matI19rocblas_complex_numIfEfLb1EPS3_TnNSt9enable_ifIX18rocblas_is_complexIT_EEiE4typeELi0EEEvNS0_17copymat_directionEiiT2_iilPT0_13rocblas_fill_17rocblas_diagonal_,"axG",@progbits,_ZN9rocsolver6v33100L8copy_matI19rocblas_complex_numIfEfLb1EPS3_TnNSt9enable_ifIX18rocblas_is_complexIT_EEiE4typeELi0EEEvNS0_17copymat_directionEiiT2_iilPT0_13rocblas_fill_17rocblas_diagonal_,comdat
	.globl	_ZN9rocsolver6v33100L8copy_matI19rocblas_complex_numIfEfLb1EPS3_TnNSt9enable_ifIX18rocblas_is_complexIT_EEiE4typeELi0EEEvNS0_17copymat_directionEiiT2_iilPT0_13rocblas_fill_17rocblas_diagonal_ ; -- Begin function _ZN9rocsolver6v33100L8copy_matI19rocblas_complex_numIfEfLb1EPS3_TnNSt9enable_ifIX18rocblas_is_complexIT_EEiE4typeELi0EEEvNS0_17copymat_directionEiiT2_iilPT0_13rocblas_fill_17rocblas_diagonal_
	.p2align	8
	.type	_ZN9rocsolver6v33100L8copy_matI19rocblas_complex_numIfEfLb1EPS3_TnNSt9enable_ifIX18rocblas_is_complexIT_EEiE4typeELi0EEEvNS0_17copymat_directionEiiT2_iilPT0_13rocblas_fill_17rocblas_diagonal_,@function
_ZN9rocsolver6v33100L8copy_matI19rocblas_complex_numIfEfLb1EPS3_TnNSt9enable_ifIX18rocblas_is_complexIT_EEiE4typeELi0EEEvNS0_17copymat_directionEiiT2_iilPT0_13rocblas_fill_17rocblas_diagonal_: ; @_ZN9rocsolver6v33100L8copy_matI19rocblas_complex_numIfEfLb1EPS3_TnNSt9enable_ifIX18rocblas_is_complexIT_EEiE4typeELi0EEEvNS0_17copymat_directionEiiT2_iilPT0_13rocblas_fill_17rocblas_diagonal_
; %bb.0:
	s_load_dwordx4 s[20:23], s[4:5], 0x0
	s_load_dword s0, s[4:5], 0x44
	s_waitcnt lgkmcnt(0)
	s_lshr_b32 s1, s0, 16
	s_and_b32 s0, s0, 0xffff
	s_mul_i32 s7, s7, s1
	s_mul_i32 s6, s6, s0
	v_add_u32_e32 v1, s7, v1
	v_add_u32_e32 v0, s6, v0
	v_cmp_gt_u32_e32 vcc, s21, v0
	v_cmp_gt_u32_e64 s[0:1], s22, v1
	s_and_b64 s[0:1], s[0:1], vcc
	s_and_saveexec_b64 s[2:3], s[0:1]
	s_cbranch_execz .LBB27_16
; %bb.1:
	s_load_dwordx2 s[2:3], s[4:5], 0x30
	s_mov_b32 s9, s21
	s_waitcnt lgkmcnt(0)
	s_cmpk_lt_i32 s2, 0x7a
	s_cbranch_scc1 .LBB27_4
; %bb.2:
	s_cmpk_gt_i32 s2, 0x7a
	s_cbranch_scc0 .LBB27_5
; %bb.3:
	s_cmpk_lg_i32 s2, 0x7b
	s_mov_b64 s[6:7], -1
	s_cselect_b64 s[10:11], -1, 0
	s_cbranch_execz .LBB27_6
	s_branch .LBB27_7
.LBB27_4:
	s_mov_b64 s[10:11], 0
	s_mov_b64 s[6:7], 0
	s_cbranch_execnz .LBB27_8
	s_branch .LBB27_10
.LBB27_5:
	s_mov_b64 s[6:7], 0
	s_mov_b64 s[10:11], 0
.LBB27_6:
	v_cmp_gt_u32_e32 vcc, v0, v1
	v_cmp_le_u32_e64 s[0:1], v0, v1
	s_andn2_b64 s[6:7], s[6:7], exec
	s_and_b64 s[12:13], vcc, exec
	s_andn2_b64 s[10:11], s[10:11], exec
	s_and_b64 s[0:1], s[0:1], exec
	s_or_b64 s[6:7], s[6:7], s[12:13]
	s_or_b64 s[10:11], s[10:11], s[0:1]
.LBB27_7:
	s_branch .LBB27_10
.LBB27_8:
	s_cmpk_eq_i32 s2, 0x79
	s_mov_b64 s[10:11], -1
	s_cbranch_scc0 .LBB27_10
; %bb.9:
	v_cmp_gt_u32_e32 vcc, v1, v0
	v_cmp_le_u32_e64 s[0:1], v1, v0
	s_andn2_b64 s[6:7], s[6:7], exec
	s_and_b64 s[10:11], vcc, exec
	s_or_b64 s[6:7], s[6:7], s[10:11]
	s_orn2_b64 s[10:11], s[0:1], exec
.LBB27_10:
	s_and_saveexec_b64 s[0:1], s[10:11]
; %bb.11:
	s_cmpk_eq_i32 s3, 0x83
	s_cselect_b64 s[2:3], -1, 0
	v_cmp_eq_u32_e32 vcc, v0, v1
	s_and_b64 s[2:3], s[2:3], vcc
	s_andn2_b64 s[6:7], s[6:7], exec
	s_and_b64 s[2:3], s[2:3], exec
	s_or_b64 s[6:7], s[6:7], s[2:3]
; %bb.12:
	s_or_b64 exec, exec, s[0:1]
	s_and_b64 exec, exec, s[6:7]
	s_cbranch_execz .LBB27_16
; %bb.13:
	s_load_dwordx8 s[12:19], s[4:5], 0x10
	s_ashr_i32 s4, s21, 31
	s_ashr_i32 s5, s22, 31
	s_mul_i32 s4, s4, s8
	s_waitcnt lgkmcnt(0)
	s_mul_i32 s2, s17, s8
	s_mul_hi_u32 s3, s16, s8
	s_add_i32 s3, s3, s2
	s_mul_i32 s2, s16, s8
	s_ashr_i32 s1, s14, 31
	s_lshl_b64 s[2:3], s[2:3], 3
	s_mov_b32 s0, s14
	s_add_u32 s2, s12, s2
	s_addc_u32 s3, s13, s3
	s_lshl_b64 s[0:1], s[0:1], 3
	s_add_u32 s2, s2, s0
	s_mul_hi_u32 s0, s21, s8
	s_addc_u32 s3, s3, s1
	s_add_i32 s0, s0, s4
	s_mul_i32 s4, s21, s8
	s_mul_i32 s1, s4, s5
	s_mul_hi_u32 s5, s4, s22
	s_add_i32 s1, s5, s1
	s_mul_i32 s0, s0, s22
	s_add_i32 s1, s1, s0
	s_mul_i32 s0, s4, s22
	s_lshl_b64 s[0:1], s[0:1], 2
	s_add_u32 s4, s18, s0
	s_addc_u32 s5, s19, s1
	s_cmp_lg_u32 s20, 0
	s_cbranch_scc0 .LBB27_17
; %bb.14:
	v_mad_u64_u32 v[2:3], s[0:1], v1, s9, v[0:1]
	v_mov_b32_e32 v3, 0
	v_mov_b32_e32 v6, s5
	v_lshlrev_b64 v[4:5], 2, v[2:3]
	v_mov_b32_e32 v7, s3
	v_add_co_u32_e32 v4, vcc, s4, v4
	v_addc_co_u32_e32 v5, vcc, v6, v5, vcc
	global_load_dword v6, v[4:5], off
	v_mad_u64_u32 v[4:5], s[0:1], v1, s15, v[0:1]
	v_mov_b32_e32 v5, v3
	v_lshlrev_b64 v[2:3], 3, v[4:5]
	v_add_co_u32_e32 v2, vcc, s2, v2
	v_addc_co_u32_e32 v3, vcc, v7, v3, vcc
	s_waitcnt vmcnt(0)
	global_store_dword v[2:3], v6, off
	s_cbranch_execnz .LBB27_16
.LBB27_15:
	v_mad_u64_u32 v[2:3], s[0:1], v1, s15, v[0:1]
	v_mov_b32_e32 v3, 0
	v_mov_b32_e32 v6, s3
	v_lshlrev_b64 v[4:5], 3, v[2:3]
	v_mad_u64_u32 v[0:1], s[0:1], v1, s9, v[0:1]
	v_add_co_u32_e32 v4, vcc, s2, v4
	v_addc_co_u32_e32 v5, vcc, v6, v5, vcc
	global_load_dword v2, v[4:5], off
	v_mov_b32_e32 v1, v3
	v_lshlrev_b64 v[0:1], 2, v[0:1]
	v_mov_b32_e32 v3, s5
	v_add_co_u32_e32 v0, vcc, s4, v0
	v_addc_co_u32_e32 v1, vcc, v3, v1, vcc
	s_waitcnt vmcnt(0)
	global_store_dword v[0:1], v2, off
.LBB27_16:
	s_endpgm
.LBB27_17:
	s_branch .LBB27_15
	.section	.rodata,"a",@progbits
	.p2align	6, 0x0
	.amdhsa_kernel _ZN9rocsolver6v33100L8copy_matI19rocblas_complex_numIfEfLb1EPS3_TnNSt9enable_ifIX18rocblas_is_complexIT_EEiE4typeELi0EEEvNS0_17copymat_directionEiiT2_iilPT0_13rocblas_fill_17rocblas_diagonal_
		.amdhsa_group_segment_fixed_size 0
		.amdhsa_private_segment_fixed_size 0
		.amdhsa_kernarg_size 312
		.amdhsa_user_sgpr_count 6
		.amdhsa_user_sgpr_private_segment_buffer 1
		.amdhsa_user_sgpr_dispatch_ptr 0
		.amdhsa_user_sgpr_queue_ptr 0
		.amdhsa_user_sgpr_kernarg_segment_ptr 1
		.amdhsa_user_sgpr_dispatch_id 0
		.amdhsa_user_sgpr_flat_scratch_init 0
		.amdhsa_user_sgpr_private_segment_size 0
		.amdhsa_uses_dynamic_stack 0
		.amdhsa_system_sgpr_private_segment_wavefront_offset 0
		.amdhsa_system_sgpr_workgroup_id_x 1
		.amdhsa_system_sgpr_workgroup_id_y 1
		.amdhsa_system_sgpr_workgroup_id_z 1
		.amdhsa_system_sgpr_workgroup_info 0
		.amdhsa_system_vgpr_workitem_id 1
		.amdhsa_next_free_vgpr 8
		.amdhsa_next_free_sgpr 24
		.amdhsa_reserve_vcc 1
		.amdhsa_reserve_flat_scratch 0
		.amdhsa_float_round_mode_32 0
		.amdhsa_float_round_mode_16_64 0
		.amdhsa_float_denorm_mode_32 3
		.amdhsa_float_denorm_mode_16_64 3
		.amdhsa_dx10_clamp 1
		.amdhsa_ieee_mode 1
		.amdhsa_fp16_overflow 0
		.amdhsa_exception_fp_ieee_invalid_op 0
		.amdhsa_exception_fp_denorm_src 0
		.amdhsa_exception_fp_ieee_div_zero 0
		.amdhsa_exception_fp_ieee_overflow 0
		.amdhsa_exception_fp_ieee_underflow 0
		.amdhsa_exception_fp_ieee_inexact 0
		.amdhsa_exception_int_div_zero 0
	.end_amdhsa_kernel
	.section	.text._ZN9rocsolver6v33100L8copy_matI19rocblas_complex_numIfEfLb1EPS3_TnNSt9enable_ifIX18rocblas_is_complexIT_EEiE4typeELi0EEEvNS0_17copymat_directionEiiT2_iilPT0_13rocblas_fill_17rocblas_diagonal_,"axG",@progbits,_ZN9rocsolver6v33100L8copy_matI19rocblas_complex_numIfEfLb1EPS3_TnNSt9enable_ifIX18rocblas_is_complexIT_EEiE4typeELi0EEEvNS0_17copymat_directionEiiT2_iilPT0_13rocblas_fill_17rocblas_diagonal_,comdat
.Lfunc_end27:
	.size	_ZN9rocsolver6v33100L8copy_matI19rocblas_complex_numIfEfLb1EPS3_TnNSt9enable_ifIX18rocblas_is_complexIT_EEiE4typeELi0EEEvNS0_17copymat_directionEiiT2_iilPT0_13rocblas_fill_17rocblas_diagonal_, .Lfunc_end27-_ZN9rocsolver6v33100L8copy_matI19rocblas_complex_numIfEfLb1EPS3_TnNSt9enable_ifIX18rocblas_is_complexIT_EEiE4typeELi0EEEvNS0_17copymat_directionEiiT2_iilPT0_13rocblas_fill_17rocblas_diagonal_
                                        ; -- End function
	.set _ZN9rocsolver6v33100L8copy_matI19rocblas_complex_numIfEfLb1EPS3_TnNSt9enable_ifIX18rocblas_is_complexIT_EEiE4typeELi0EEEvNS0_17copymat_directionEiiT2_iilPT0_13rocblas_fill_17rocblas_diagonal_.num_vgpr, 8
	.set _ZN9rocsolver6v33100L8copy_matI19rocblas_complex_numIfEfLb1EPS3_TnNSt9enable_ifIX18rocblas_is_complexIT_EEiE4typeELi0EEEvNS0_17copymat_directionEiiT2_iilPT0_13rocblas_fill_17rocblas_diagonal_.num_agpr, 0
	.set _ZN9rocsolver6v33100L8copy_matI19rocblas_complex_numIfEfLb1EPS3_TnNSt9enable_ifIX18rocblas_is_complexIT_EEiE4typeELi0EEEvNS0_17copymat_directionEiiT2_iilPT0_13rocblas_fill_17rocblas_diagonal_.numbered_sgpr, 24
	.set _ZN9rocsolver6v33100L8copy_matI19rocblas_complex_numIfEfLb1EPS3_TnNSt9enable_ifIX18rocblas_is_complexIT_EEiE4typeELi0EEEvNS0_17copymat_directionEiiT2_iilPT0_13rocblas_fill_17rocblas_diagonal_.num_named_barrier, 0
	.set _ZN9rocsolver6v33100L8copy_matI19rocblas_complex_numIfEfLb1EPS3_TnNSt9enable_ifIX18rocblas_is_complexIT_EEiE4typeELi0EEEvNS0_17copymat_directionEiiT2_iilPT0_13rocblas_fill_17rocblas_diagonal_.private_seg_size, 0
	.set _ZN9rocsolver6v33100L8copy_matI19rocblas_complex_numIfEfLb1EPS3_TnNSt9enable_ifIX18rocblas_is_complexIT_EEiE4typeELi0EEEvNS0_17copymat_directionEiiT2_iilPT0_13rocblas_fill_17rocblas_diagonal_.uses_vcc, 1
	.set _ZN9rocsolver6v33100L8copy_matI19rocblas_complex_numIfEfLb1EPS3_TnNSt9enable_ifIX18rocblas_is_complexIT_EEiE4typeELi0EEEvNS0_17copymat_directionEiiT2_iilPT0_13rocblas_fill_17rocblas_diagonal_.uses_flat_scratch, 0
	.set _ZN9rocsolver6v33100L8copy_matI19rocblas_complex_numIfEfLb1EPS3_TnNSt9enable_ifIX18rocblas_is_complexIT_EEiE4typeELi0EEEvNS0_17copymat_directionEiiT2_iilPT0_13rocblas_fill_17rocblas_diagonal_.has_dyn_sized_stack, 0
	.set _ZN9rocsolver6v33100L8copy_matI19rocblas_complex_numIfEfLb1EPS3_TnNSt9enable_ifIX18rocblas_is_complexIT_EEiE4typeELi0EEEvNS0_17copymat_directionEiiT2_iilPT0_13rocblas_fill_17rocblas_diagonal_.has_recursion, 0
	.set _ZN9rocsolver6v33100L8copy_matI19rocblas_complex_numIfEfLb1EPS3_TnNSt9enable_ifIX18rocblas_is_complexIT_EEiE4typeELi0EEEvNS0_17copymat_directionEiiT2_iilPT0_13rocblas_fill_17rocblas_diagonal_.has_indirect_call, 0
	.section	.AMDGPU.csdata,"",@progbits
; Kernel info:
; codeLenInByte = 580
; TotalNumSgprs: 28
; NumVgprs: 8
; ScratchSize: 0
; MemoryBound: 0
; FloatMode: 240
; IeeeMode: 1
; LDSByteSize: 0 bytes/workgroup (compile time only)
; SGPRBlocks: 3
; VGPRBlocks: 1
; NumSGPRsForWavesPerEU: 28
; NumVGPRsForWavesPerEU: 8
; Occupancy: 10
; WaveLimiterHint : 0
; COMPUTE_PGM_RSRC2:SCRATCH_EN: 0
; COMPUTE_PGM_RSRC2:USER_SGPR: 6
; COMPUTE_PGM_RSRC2:TRAP_HANDLER: 0
; COMPUTE_PGM_RSRC2:TGID_X_EN: 1
; COMPUTE_PGM_RSRC2:TGID_Y_EN: 1
; COMPUTE_PGM_RSRC2:TGID_Z_EN: 1
; COMPUTE_PGM_RSRC2:TIDIG_COMP_CNT: 1
	.section	.text._ZN9rocsolver6v33100L8copy_matI19rocblas_complex_numIfEfLb0EPS3_TnNSt9enable_ifIX18rocblas_is_complexIT_EEiE4typeELi0EEEvNS0_17copymat_directionEiiT2_iilPT0_13rocblas_fill_17rocblas_diagonal_,"axG",@progbits,_ZN9rocsolver6v33100L8copy_matI19rocblas_complex_numIfEfLb0EPS3_TnNSt9enable_ifIX18rocblas_is_complexIT_EEiE4typeELi0EEEvNS0_17copymat_directionEiiT2_iilPT0_13rocblas_fill_17rocblas_diagonal_,comdat
	.globl	_ZN9rocsolver6v33100L8copy_matI19rocblas_complex_numIfEfLb0EPS3_TnNSt9enable_ifIX18rocblas_is_complexIT_EEiE4typeELi0EEEvNS0_17copymat_directionEiiT2_iilPT0_13rocblas_fill_17rocblas_diagonal_ ; -- Begin function _ZN9rocsolver6v33100L8copy_matI19rocblas_complex_numIfEfLb0EPS3_TnNSt9enable_ifIX18rocblas_is_complexIT_EEiE4typeELi0EEEvNS0_17copymat_directionEiiT2_iilPT0_13rocblas_fill_17rocblas_diagonal_
	.p2align	8
	.type	_ZN9rocsolver6v33100L8copy_matI19rocblas_complex_numIfEfLb0EPS3_TnNSt9enable_ifIX18rocblas_is_complexIT_EEiE4typeELi0EEEvNS0_17copymat_directionEiiT2_iilPT0_13rocblas_fill_17rocblas_diagonal_,@function
_ZN9rocsolver6v33100L8copy_matI19rocblas_complex_numIfEfLb0EPS3_TnNSt9enable_ifIX18rocblas_is_complexIT_EEiE4typeELi0EEEvNS0_17copymat_directionEiiT2_iilPT0_13rocblas_fill_17rocblas_diagonal_: ; @_ZN9rocsolver6v33100L8copy_matI19rocblas_complex_numIfEfLb0EPS3_TnNSt9enable_ifIX18rocblas_is_complexIT_EEiE4typeELi0EEEvNS0_17copymat_directionEiiT2_iilPT0_13rocblas_fill_17rocblas_diagonal_
; %bb.0:
	s_load_dwordx4 s[12:15], s[4:5], 0x0
	s_load_dword s0, s[4:5], 0x44
	s_waitcnt lgkmcnt(0)
	s_lshr_b32 s1, s0, 16
	s_and_b32 s0, s0, 0xffff
	s_mul_i32 s7, s7, s1
	s_mul_i32 s6, s6, s0
	v_add_u32_e32 v4, s7, v1
	v_add_u32_e32 v0, s6, v0
	v_cmp_gt_u32_e32 vcc, s13, v0
	v_cmp_gt_u32_e64 s[0:1], s14, v4
	s_and_b64 s[0:1], s[0:1], vcc
	s_and_saveexec_b64 s[2:3], s[0:1]
	s_cbranch_execz .LBB28_16
; %bb.1:
	s_load_dwordx2 s[2:3], s[4:5], 0x30
	s_mov_b32 s9, s13
	s_waitcnt lgkmcnt(0)
	s_cmpk_lt_i32 s2, 0x7a
	s_cbranch_scc1 .LBB28_4
; %bb.2:
	s_cmpk_gt_i32 s2, 0x7a
	s_cbranch_scc0 .LBB28_5
; %bb.3:
	s_cmpk_lg_i32 s2, 0x7b
	s_mov_b64 s[6:7], -1
	s_cselect_b64 s[10:11], -1, 0
	s_cbranch_execz .LBB28_6
	s_branch .LBB28_7
.LBB28_4:
	s_mov_b64 s[10:11], 0
	s_mov_b64 s[6:7], 0
	s_cbranch_execnz .LBB28_8
	s_branch .LBB28_10
.LBB28_5:
	s_mov_b64 s[6:7], 0
	s_mov_b64 s[10:11], 0
.LBB28_6:
	v_cmp_gt_u32_e32 vcc, v0, v4
	v_cmp_le_u32_e64 s[0:1], v0, v4
	s_andn2_b64 s[6:7], s[6:7], exec
	s_and_b64 s[16:17], vcc, exec
	s_andn2_b64 s[10:11], s[10:11], exec
	s_and_b64 s[0:1], s[0:1], exec
	s_or_b64 s[6:7], s[6:7], s[16:17]
	s_or_b64 s[10:11], s[10:11], s[0:1]
.LBB28_7:
	s_branch .LBB28_10
.LBB28_8:
	s_cmpk_eq_i32 s2, 0x79
	s_mov_b64 s[10:11], -1
	s_cbranch_scc0 .LBB28_10
; %bb.9:
	v_cmp_gt_u32_e32 vcc, v4, v0
	v_cmp_le_u32_e64 s[0:1], v4, v0
	s_andn2_b64 s[6:7], s[6:7], exec
	s_and_b64 s[10:11], vcc, exec
	s_or_b64 s[6:7], s[6:7], s[10:11]
	s_orn2_b64 s[10:11], s[0:1], exec
.LBB28_10:
	s_and_saveexec_b64 s[0:1], s[10:11]
; %bb.11:
	s_cmpk_eq_i32 s3, 0x83
	s_cselect_b64 s[2:3], -1, 0
	v_cmp_eq_u32_e32 vcc, v0, v4
	s_and_b64 s[2:3], s[2:3], vcc
	s_andn2_b64 s[6:7], s[6:7], exec
	s_and_b64 s[2:3], s[2:3], exec
	s_or_b64 s[6:7], s[6:7], s[2:3]
; %bb.12:
	s_or_b64 exec, exec, s[0:1]
	s_and_b64 exec, exec, s[6:7]
	s_cbranch_execz .LBB28_16
; %bb.13:
	s_load_dwordx8 s[16:23], s[4:5], 0x10
	s_ashr_i32 s4, s13, 31
	s_ashr_i32 s5, s14, 31
	s_mul_i32 s4, s4, s8
	s_waitcnt lgkmcnt(0)
	s_mul_i32 s2, s21, s8
	s_mul_hi_u32 s3, s20, s8
	s_add_i32 s3, s3, s2
	s_mul_i32 s2, s20, s8
	s_ashr_i32 s1, s18, 31
	s_lshl_b64 s[2:3], s[2:3], 3
	s_mov_b32 s0, s18
	s_add_u32 s2, s16, s2
	s_addc_u32 s3, s17, s3
	s_lshl_b64 s[0:1], s[0:1], 3
	s_add_u32 s6, s2, s0
	s_mul_hi_u32 s0, s13, s8
	s_mul_i32 s2, s13, s8
	s_addc_u32 s7, s3, s1
	s_add_i32 s0, s0, s4
	s_mul_i32 s1, s2, s5
	v_mad_u64_u32 v[2:3], s[4:5], v4, s19, v[0:1]
	s_mul_hi_u32 s3, s2, s14
	s_add_i32 s1, s3, s1
	s_mul_i32 s0, s0, s14
	s_add_i32 s1, s1, s0
	s_mul_i32 s0, s2, s14
	v_mov_b32_e32 v3, 0
	s_lshl_b64 s[0:1], s[0:1], 2
	v_lshlrev_b64 v[1:2], 3, v[2:3]
	s_add_u32 s2, s22, s0
	s_addc_u32 s3, s23, s1
	v_mov_b32_e32 v5, s7
	v_add_co_u32_e32 v1, vcc, s6, v1
	s_cmp_lg_u32 s12, 0
	v_addc_co_u32_e32 v2, vcc, v5, v2, vcc
	s_cbranch_scc0 .LBB28_17
; %bb.14:
	v_mad_u64_u32 v[5:6], s[0:1], v4, s9, v[0:1]
	v_mov_b32_e32 v6, v3
	v_mov_b32_e32 v7, s3
	v_lshlrev_b64 v[5:6], 2, v[5:6]
	v_add_co_u32_e32 v5, vcc, s2, v5
	v_addc_co_u32_e32 v6, vcc, v7, v6, vcc
	global_load_dword v3, v[5:6], off
	s_waitcnt vmcnt(0)
	global_store_dword v[1:2], v3, off offset:4
	s_cbranch_execnz .LBB28_16
.LBB28_15:
	global_load_dword v2, v[1:2], off offset:4
	v_mad_u64_u32 v[0:1], s[0:1], v4, s9, v[0:1]
	v_mov_b32_e32 v1, 0
	v_mov_b32_e32 v3, s3
	v_lshlrev_b64 v[0:1], 2, v[0:1]
	v_add_co_u32_e32 v0, vcc, s2, v0
	v_addc_co_u32_e32 v1, vcc, v3, v1, vcc
	s_waitcnt vmcnt(0)
	global_store_dword v[0:1], v2, off
.LBB28_16:
	s_endpgm
.LBB28_17:
	s_branch .LBB28_15
	.section	.rodata,"a",@progbits
	.p2align	6, 0x0
	.amdhsa_kernel _ZN9rocsolver6v33100L8copy_matI19rocblas_complex_numIfEfLb0EPS3_TnNSt9enable_ifIX18rocblas_is_complexIT_EEiE4typeELi0EEEvNS0_17copymat_directionEiiT2_iilPT0_13rocblas_fill_17rocblas_diagonal_
		.amdhsa_group_segment_fixed_size 0
		.amdhsa_private_segment_fixed_size 0
		.amdhsa_kernarg_size 312
		.amdhsa_user_sgpr_count 6
		.amdhsa_user_sgpr_private_segment_buffer 1
		.amdhsa_user_sgpr_dispatch_ptr 0
		.amdhsa_user_sgpr_queue_ptr 0
		.amdhsa_user_sgpr_kernarg_segment_ptr 1
		.amdhsa_user_sgpr_dispatch_id 0
		.amdhsa_user_sgpr_flat_scratch_init 0
		.amdhsa_user_sgpr_private_segment_size 0
		.amdhsa_uses_dynamic_stack 0
		.amdhsa_system_sgpr_private_segment_wavefront_offset 0
		.amdhsa_system_sgpr_workgroup_id_x 1
		.amdhsa_system_sgpr_workgroup_id_y 1
		.amdhsa_system_sgpr_workgroup_id_z 1
		.amdhsa_system_sgpr_workgroup_info 0
		.amdhsa_system_vgpr_workitem_id 1
		.amdhsa_next_free_vgpr 8
		.amdhsa_next_free_sgpr 24
		.amdhsa_reserve_vcc 1
		.amdhsa_reserve_flat_scratch 0
		.amdhsa_float_round_mode_32 0
		.amdhsa_float_round_mode_16_64 0
		.amdhsa_float_denorm_mode_32 3
		.amdhsa_float_denorm_mode_16_64 3
		.amdhsa_dx10_clamp 1
		.amdhsa_ieee_mode 1
		.amdhsa_fp16_overflow 0
		.amdhsa_exception_fp_ieee_invalid_op 0
		.amdhsa_exception_fp_denorm_src 0
		.amdhsa_exception_fp_ieee_div_zero 0
		.amdhsa_exception_fp_ieee_overflow 0
		.amdhsa_exception_fp_ieee_underflow 0
		.amdhsa_exception_fp_ieee_inexact 0
		.amdhsa_exception_int_div_zero 0
	.end_amdhsa_kernel
	.section	.text._ZN9rocsolver6v33100L8copy_matI19rocblas_complex_numIfEfLb0EPS3_TnNSt9enable_ifIX18rocblas_is_complexIT_EEiE4typeELi0EEEvNS0_17copymat_directionEiiT2_iilPT0_13rocblas_fill_17rocblas_diagonal_,"axG",@progbits,_ZN9rocsolver6v33100L8copy_matI19rocblas_complex_numIfEfLb0EPS3_TnNSt9enable_ifIX18rocblas_is_complexIT_EEiE4typeELi0EEEvNS0_17copymat_directionEiiT2_iilPT0_13rocblas_fill_17rocblas_diagonal_,comdat
.Lfunc_end28:
	.size	_ZN9rocsolver6v33100L8copy_matI19rocblas_complex_numIfEfLb0EPS3_TnNSt9enable_ifIX18rocblas_is_complexIT_EEiE4typeELi0EEEvNS0_17copymat_directionEiiT2_iilPT0_13rocblas_fill_17rocblas_diagonal_, .Lfunc_end28-_ZN9rocsolver6v33100L8copy_matI19rocblas_complex_numIfEfLb0EPS3_TnNSt9enable_ifIX18rocblas_is_complexIT_EEiE4typeELi0EEEvNS0_17copymat_directionEiiT2_iilPT0_13rocblas_fill_17rocblas_diagonal_
                                        ; -- End function
	.set _ZN9rocsolver6v33100L8copy_matI19rocblas_complex_numIfEfLb0EPS3_TnNSt9enable_ifIX18rocblas_is_complexIT_EEiE4typeELi0EEEvNS0_17copymat_directionEiiT2_iilPT0_13rocblas_fill_17rocblas_diagonal_.num_vgpr, 8
	.set _ZN9rocsolver6v33100L8copy_matI19rocblas_complex_numIfEfLb0EPS3_TnNSt9enable_ifIX18rocblas_is_complexIT_EEiE4typeELi0EEEvNS0_17copymat_directionEiiT2_iilPT0_13rocblas_fill_17rocblas_diagonal_.num_agpr, 0
	.set _ZN9rocsolver6v33100L8copy_matI19rocblas_complex_numIfEfLb0EPS3_TnNSt9enable_ifIX18rocblas_is_complexIT_EEiE4typeELi0EEEvNS0_17copymat_directionEiiT2_iilPT0_13rocblas_fill_17rocblas_diagonal_.numbered_sgpr, 24
	.set _ZN9rocsolver6v33100L8copy_matI19rocblas_complex_numIfEfLb0EPS3_TnNSt9enable_ifIX18rocblas_is_complexIT_EEiE4typeELi0EEEvNS0_17copymat_directionEiiT2_iilPT0_13rocblas_fill_17rocblas_diagonal_.num_named_barrier, 0
	.set _ZN9rocsolver6v33100L8copy_matI19rocblas_complex_numIfEfLb0EPS3_TnNSt9enable_ifIX18rocblas_is_complexIT_EEiE4typeELi0EEEvNS0_17copymat_directionEiiT2_iilPT0_13rocblas_fill_17rocblas_diagonal_.private_seg_size, 0
	.set _ZN9rocsolver6v33100L8copy_matI19rocblas_complex_numIfEfLb0EPS3_TnNSt9enable_ifIX18rocblas_is_complexIT_EEiE4typeELi0EEEvNS0_17copymat_directionEiiT2_iilPT0_13rocblas_fill_17rocblas_diagonal_.uses_vcc, 1
	.set _ZN9rocsolver6v33100L8copy_matI19rocblas_complex_numIfEfLb0EPS3_TnNSt9enable_ifIX18rocblas_is_complexIT_EEiE4typeELi0EEEvNS0_17copymat_directionEiiT2_iilPT0_13rocblas_fill_17rocblas_diagonal_.uses_flat_scratch, 0
	.set _ZN9rocsolver6v33100L8copy_matI19rocblas_complex_numIfEfLb0EPS3_TnNSt9enable_ifIX18rocblas_is_complexIT_EEiE4typeELi0EEEvNS0_17copymat_directionEiiT2_iilPT0_13rocblas_fill_17rocblas_diagonal_.has_dyn_sized_stack, 0
	.set _ZN9rocsolver6v33100L8copy_matI19rocblas_complex_numIfEfLb0EPS3_TnNSt9enable_ifIX18rocblas_is_complexIT_EEiE4typeELi0EEEvNS0_17copymat_directionEiiT2_iilPT0_13rocblas_fill_17rocblas_diagonal_.has_recursion, 0
	.set _ZN9rocsolver6v33100L8copy_matI19rocblas_complex_numIfEfLb0EPS3_TnNSt9enable_ifIX18rocblas_is_complexIT_EEiE4typeELi0EEEvNS0_17copymat_directionEiiT2_iilPT0_13rocblas_fill_17rocblas_diagonal_.has_indirect_call, 0
	.section	.AMDGPU.csdata,"",@progbits
; Kernel info:
; codeLenInByte = 548
; TotalNumSgprs: 28
; NumVgprs: 8
; ScratchSize: 0
; MemoryBound: 0
; FloatMode: 240
; IeeeMode: 1
; LDSByteSize: 0 bytes/workgroup (compile time only)
; SGPRBlocks: 3
; VGPRBlocks: 1
; NumSGPRsForWavesPerEU: 28
; NumVGPRsForWavesPerEU: 8
; Occupancy: 10
; WaveLimiterHint : 0
; COMPUTE_PGM_RSRC2:SCRATCH_EN: 0
; COMPUTE_PGM_RSRC2:USER_SGPR: 6
; COMPUTE_PGM_RSRC2:TRAP_HANDLER: 0
; COMPUTE_PGM_RSRC2:TGID_X_EN: 1
; COMPUTE_PGM_RSRC2:TGID_Y_EN: 1
; COMPUTE_PGM_RSRC2:TGID_Z_EN: 1
; COMPUTE_PGM_RSRC2:TIDIG_COMP_CNT: 1
	.section	.text._ZN9rocsolver6v33100L11stedcj_sortI19rocblas_complex_numIfEfPS3_EEviPT0_lT1_iiliPiS8_,"axG",@progbits,_ZN9rocsolver6v33100L11stedcj_sortI19rocblas_complex_numIfEfPS3_EEviPT0_lT1_iiliPiS8_,comdat
	.globl	_ZN9rocsolver6v33100L11stedcj_sortI19rocblas_complex_numIfEfPS3_EEviPT0_lT1_iiliPiS8_ ; -- Begin function _ZN9rocsolver6v33100L11stedcj_sortI19rocblas_complex_numIfEfPS3_EEviPT0_lT1_iiliPiS8_
	.p2align	8
	.type	_ZN9rocsolver6v33100L11stedcj_sortI19rocblas_complex_numIfEfPS3_EEviPT0_lT1_iiliPiS8_,@function
_ZN9rocsolver6v33100L11stedcj_sortI19rocblas_complex_numIfEfPS3_EEviPT0_lT1_iiliPiS8_: ; @_ZN9rocsolver6v33100L11stedcj_sortI19rocblas_complex_numIfEfPS3_EEviPT0_lT1_iiliPiS8_
; %bb.0:
	s_load_dword s33, s[4:5], 0x30
	s_add_u32 flat_scratch_lo, s6, s10
	s_addc_u32 flat_scratch_hi, s7, 0
	s_add_u32 s0, s0, s10
	s_addc_u32 s1, s1, 0
	s_waitcnt lgkmcnt(0)
	s_cmp_ge_i32 s9, s33
	s_mov_b32 s32, 0
	s_cbranch_scc1 .LBB29_70
; %bb.1:
	s_load_dword s62, s[4:5], 0x0
	s_load_dwordx8 s[16:23], s[4:5], 0x8
	s_load_dwordx2 s[26:27], s[4:5], 0x28
	s_load_dwordx4 s[12:15], s[4:5], 0x38
	s_add_u32 s28, s4, 0x48
	s_waitcnt lgkmcnt(0)
	s_mul_hi_i32 s7, s62, s9
	s_mul_i32 s6, s62, s9
	s_addc_u32 s29, s5, 0
	s_lshl_b64 s[6:7], s[6:7], 2
	s_add_u32 s64, s12, s6
	s_addc_u32 s65, s13, s7
	s_cmp_lg_u64 s[20:21], 0
	s_mov_b32 s24, s9
	s_cselect_b64 s[8:9], -1, 0
	s_ashr_i32 s7, s22, 31
	s_mov_b32 s6, s22
	s_lshl_b64 s[6:7], s[6:7], 3
	s_add_u32 s66, s20, s6
	s_addc_u32 s67, s21, s7
	s_cmp_lg_u64 s[14:15], 0
	s_cselect_b64 s[20:21], -1, 0
	s_cmp_eq_u64 s[16:17], 0
	s_load_dword s63, s[4:5], 0x50
	s_cselect_b64 s[34:35], -1, 0
	s_cmp_lg_u64 s[12:13], 0
	s_cselect_b64 s[38:39], -1, 0
	s_min_i32 s10, s62, s23
	v_or3_b32 v3, v1, v2, v0
	s_cmp_gt_i32 s10, 0
	v_cmp_eq_u32_e64 s[6:7], 0, v3
	s_cselect_b64 s[10:11], -1, 0
	v_cndmask_b32_e64 v3, 0, 1, s[8:9]
	s_mov_b64 s[30:31], 0
	s_mov_b32 s37, 0
	s_mov_b32 s68, s23
	v_cndmask_b32_e64 v7, 0, 1, s[38:39]
	s_and_b64 s[40:41], s[10:11], s[38:39]
	v_mov_b32_e32 v4, 0
	v_cmp_ne_u32_e64 s[8:9], 1, v3
                                        ; implicit-def: $sgpr42_sgpr43
                                        ; implicit-def: $sgpr22_sgpr23
                                        ; implicit-def: $sgpr44_sgpr45
                                        ; implicit-def: $sgpr46_sgpr47
	s_branch .LBB29_4
.LBB29_2:                               ;   in Loop: Header=BB29_4 Depth=1
	s_or_b64 exec, exec, s[12:13]
	s_andn2_b64 s[10:11], s[46:47], exec
	s_and_b64 s[12:13], s[48:49], exec
	s_or_b64 s[46:47], s[10:11], s[12:13]
	s_andn2_b64 s[44:45], s[44:45], exec
	s_orn2_b64 s[12:13], s[52:53], exec
.LBB29_3:                               ;   in Loop: Header=BB29_4 Depth=1
	s_or_b64 exec, exec, s[50:51]
	s_and_b64 s[10:11], exec, s[12:13]
	s_or_b64 s[30:31], s[10:11], s[30:31]
	s_andn2_b64 s[10:11], s[22:23], exec
	s_and_b64 s[12:13], s[46:47], exec
	s_or_b64 s[22:23], s[10:11], s[12:13]
	s_andn2_b64 s[10:11], s[42:43], exec
	s_and_b64 s[12:13], s[44:45], exec
	s_or_b64 s[42:43], s[10:11], s[12:13]
	s_andn2_b64 exec, exec, s[30:31]
	s_cbranch_execz .LBB29_66
.LBB29_4:                               ; =>This Loop Header: Depth=1
                                        ;     Child Loop BB29_11 Depth 2
                                        ;     Child Loop BB29_15 Depth 2
                                        ;       Child Loop BB29_18 Depth 3
                                        ;         Child Loop BB29_22 Depth 4
                                        ;     Child Loop BB29_33 Depth 2
                                        ;     Child Loop BB29_47 Depth 2
                                        ;       Child Loop BB29_49 Depth 3
                                        ;         Child Loop BB29_54 Depth 4
                                        ;     Child Loop BB29_58 Depth 2
	s_ashr_i32 s25, s24, 31
	s_and_b64 vcc, exec, s[8:9]
	s_mov_b64 s[48:49], 0
	s_cbranch_vccnz .LBB29_6
; %bb.5:                                ;   in Loop: Header=BB29_4 Depth=1
	s_mul_i32 s10, s26, s25
	s_mul_hi_u32 s11, s26, s24
	s_add_i32 s10, s11, s10
	s_mul_i32 s11, s27, s24
	s_add_i32 s11, s10, s11
	s_mul_i32 s10, s26, s24
	s_lshl_b64 s[10:11], s[10:11], 3
	s_add_u32 s48, s66, s10
	s_addc_u32 s49, s67, s11
.LBB29_6:                               ;   in Loop: Header=BB29_4 Depth=1
	s_andn2_b64 vcc, exec, s[20:21]
	s_mov_b32 s69, s62
	s_cbranch_vccnz .LBB29_8
; %bb.7:                                ;   in Loop: Header=BB29_4 Depth=1
	s_lshl_b64 s[10:11], s[24:25], 2
	s_add_u32 s10, s14, s10
	s_addc_u32 s11, s15, s11
	global_load_dword v3, v4, s[10:11]
	s_waitcnt vmcnt(0)
	v_readfirstlane_b32 s69, v3
.LBB29_8:                               ;   in Loop: Header=BB29_4 Depth=1
	s_cmp_lt_i32 s69, 1
	s_cselect_b64 s[10:11], -1, 0
	s_or_b64 s[10:11], s[34:35], s[10:11]
	s_mov_b64 s[12:13], -1
	s_and_b64 vcc, exec, s[10:11]
	s_mov_b64 s[10:11], -1
	s_waitcnt lgkmcnt(0)
	s_barrier
	s_cbranch_vccnz .LBB29_42
; %bb.9:                                ;   in Loop: Header=BB29_4 Depth=1
	s_load_dwordx2 s[10:11], s[28:29], 0xc
	s_waitcnt lgkmcnt(0)
	s_barrier
	s_lshr_b32 s36, s10, 16
	s_and_b32 s10, s10, 0xffff
	s_mul_i32 s70, s36, s10
	v_mul_lo_u32 v3, s70, v2
	v_mul_u32_u24_e32 v5, s10, v1
	s_and_b32 s11, s11, 0xffff
	s_mul_i32 s70, s70, s11
	v_add3_u32 v5, v5, v0, v3
	v_cmp_gt_u32_e32 vcc, s69, v5
	s_and_b64 s[50:51], s[38:39], vcc
	s_and_saveexec_b64 s[10:11], s[50:51]
	s_cbranch_execz .LBB29_12
; %bb.10:                               ;   in Loop: Header=BB29_4 Depth=1
	s_mov_b64 s[50:51], 0
	v_mov_b32_e32 v3, v5
.LBB29_11:                              ;   Parent Loop BB29_4 Depth=1
                                        ; =>  This Inner Loop Header: Depth=2
	v_lshlrev_b64 v[8:9], 2, v[3:4]
	v_mov_b32_e32 v6, s65
	v_add_co_u32_e32 v8, vcc, s64, v8
	v_addc_co_u32_e32 v9, vcc, v6, v9, vcc
	global_store_dword v[8:9], v3, off
	v_add_u32_e32 v3, s70, v3
	v_cmp_le_u32_e32 vcc, s69, v3
	s_or_b64 s[50:51], vcc, s[50:51]
	s_andn2_b64 exec, exec, s[50:51]
	s_cbranch_execnz .LBB29_11
.LBB29_12:                              ;   in Loop: Header=BB29_4 Depth=1
	s_or_b64 exec, exec, s[10:11]
	s_mul_i32 s10, s18, s25
	s_mul_hi_u32 s11, s18, s24
	s_add_i32 s10, s11, s10
	s_mul_i32 s11, s19, s24
	s_add_i32 s11, s10, s11
	s_mul_i32 s10, s18, s24
	s_lshl_b64 s[10:11], s[10:11], 2
	s_add_u32 s25, s16, s10
	s_addc_u32 s71, s17, s11
	s_waitcnt vmcnt(0)
	s_barrier
	s_and_saveexec_b64 s[50:51], s[6:7]
	s_cbranch_execz .LBB29_29
; %bb.13:                               ;   in Loop: Header=BB29_4 Depth=1
	s_mov_b32 s52, 0
	s_branch .LBB29_15
.LBB29_14:                              ;   in Loop: Header=BB29_15 Depth=2
	s_add_i32 s52, s52, 1
	s_cmp_eq_u32 s52, 8
	s_cbranch_scc1 .LBB29_29
.LBB29_15:                              ;   Parent Loop BB29_4 Depth=1
                                        ; =>  This Loop Header: Depth=2
                                        ;       Child Loop BB29_18 Depth 3
                                        ;         Child Loop BB29_22 Depth 4
	s_mov_b32 s53, s37
	s_lshl_b64 s[10:11], s[52:53], 2
	s_getpc_b64 s[54:55]
	s_add_u32 s54, s54, __const._ZN9rocsolver6v33100L20shell_sort_ascendingIfiEEvT0_PT_PS2_.gaps@rel32@lo+4
	s_addc_u32 s55, s55, __const._ZN9rocsolver6v33100L20shell_sort_ascendingIfiEEvT0_PT_PS2_.gaps@rel32@hi+12
	s_add_u32 s10, s54, s10
	s_addc_u32 s11, s55, s11
	s_load_dword s53, s[10:11], 0x0
	s_waitcnt lgkmcnt(0)
	s_cmp_ge_i32 s53, s69
	s_cbranch_scc1 .LBB29_14
; %bb.16:                               ;   in Loop: Header=BB29_15 Depth=2
	s_mov_b32 s72, 0
	s_mov_b32 s54, s53
	s_branch .LBB29_18
.LBB29_17:                              ;   in Loop: Header=BB29_18 Depth=3
	s_add_i32 s54, s54, 1
	s_add_i32 s72, s72, 1
	s_cmp_ge_i32 s54, s69
	s_cbranch_scc1 .LBB29_14
.LBB29_18:                              ;   Parent Loop BB29_4 Depth=1
                                        ;     Parent Loop BB29_15 Depth=2
                                        ; =>    This Loop Header: Depth=3
                                        ;         Child Loop BB29_22 Depth 4
	s_ashr_i32 s55, s54, 31
	s_lshl_b64 s[56:57], s[54:55], 2
	s_add_u32 s10, s25, s56
	s_addc_u32 s11, s71, s57
	global_load_dword v3, v4, s[10:11]
	v_cmp_ne_u32_e64 s[10:11], 1, v7
	s_andn2_b64 vcc, exec, s[38:39]
	s_cbranch_vccnz .LBB29_20
; %bb.19:                               ;   in Loop: Header=BB29_18 Depth=3
	s_add_u32 s56, s64, s56
	s_addc_u32 s57, s65, s57
	global_load_dword v6, v4, s[56:57]
	s_cmp_lt_i32 s54, s53
	s_mov_b64 s[56:57], s[54:55]
	s_mov_b32 s36, s72
	s_cbranch_scc0 .LBB29_22
	s_branch .LBB29_27
.LBB29_20:                              ;   in Loop: Header=BB29_18 Depth=3
	v_mov_b32_e32 v6, 0
	s_cmp_lt_i32 s54, s53
	s_mov_b64 s[56:57], s[54:55]
	s_mov_b32 s36, s72
	s_cbranch_scc0 .LBB29_22
	s_branch .LBB29_27
.LBB29_21:                              ;   in Loop: Header=BB29_22 Depth=4
                                        ; implicit-def: $sgpr55
	s_and_b64 vcc, exec, s[60:61]
	s_mov_b32 s36, s55
	s_cbranch_vccnz .LBB29_26
.LBB29_22:                              ;   Parent Loop BB29_4 Depth=1
                                        ;     Parent Loop BB29_15 Depth=2
                                        ;       Parent Loop BB29_18 Depth=3
                                        ; =>      This Inner Loop Header: Depth=4
	s_add_i32 s56, s53, s36
	s_lshl_b64 s[58:59], s[36:37], 2
	s_add_u32 s60, s25, s58
	s_addc_u32 s61, s71, s59
	global_load_dword v8, v4, s[60:61]
	s_mov_b64 s[60:61], -1
	s_waitcnt vmcnt(0)
	v_cmp_ngt_f32_e32 vcc, v8, v3
	s_cbranch_vccnz .LBB29_21
; %bb.23:                               ;   in Loop: Header=BB29_22 Depth=4
	s_ashr_i32 s57, s56, 31
	s_lshl_b64 s[56:57], s[56:57], 2
	s_add_u32 s60, s25, s56
	s_addc_u32 s61, s71, s57
	s_and_b64 vcc, exec, s[10:11]
	global_store_dword v4, v8, s[60:61]
	s_cbranch_vccnz .LBB29_25
; %bb.24:                               ;   in Loop: Header=BB29_22 Depth=4
	s_add_u32 s56, s64, s56
	s_addc_u32 s57, s65, s57
	s_add_u32 s58, s64, s58
	s_addc_u32 s59, s65, s59
	global_load_dword v8, v4, s[58:59]
	s_waitcnt vmcnt(0)
	global_store_dword v4, v8, s[56:57]
.LBB29_25:                              ;   in Loop: Header=BB29_22 Depth=4
	s_sub_i32 s55, s36, s53
	s_cmp_lt_i32 s36, s53
	s_cselect_b64 s[60:61], -1, 0
	s_mov_b32 s56, s36
	s_and_b64 vcc, exec, s[60:61]
	s_mov_b32 s36, s55
	s_cbranch_vccz .LBB29_22
.LBB29_26:                              ;   in Loop: Header=BB29_18 Depth=3
	s_ashr_i32 s57, s56, 31
.LBB29_27:                              ;   in Loop: Header=BB29_18 Depth=3
	s_lshl_b64 s[56:57], s[56:57], 2
	s_add_u32 s58, s25, s56
	s_addc_u32 s59, s71, s57
	s_and_b64 vcc, exec, s[10:11]
	s_waitcnt vmcnt(0)
	global_store_dword v4, v3, s[58:59]
	s_cbranch_vccnz .LBB29_17
; %bb.28:                               ;   in Loop: Header=BB29_18 Depth=3
	s_add_u32 s10, s64, s56
	s_addc_u32 s11, s65, s57
	global_store_dword v4, v6, s[10:11]
	s_branch .LBB29_17
.LBB29_29:                              ;   in Loop: Header=BB29_4 Depth=1
	s_or_b64 exec, exec, s[50:51]
	s_cmp_lt_u32 s69, 2
	s_cselect_b64 s[52:53], -1, 0
	s_and_b64 vcc, exec, s[52:53]
	s_waitcnt vmcnt(0)
	s_barrier
	s_cbranch_vccnz .LBB29_39
; %bb.30:                               ;   in Loop: Header=BB29_4 Depth=1
	s_add_i32 s36, s69, -1
	v_cmp_gt_u32_e32 vcc, s36, v5
	s_mov_b64 s[52:53], -1
	s_and_saveexec_b64 s[50:51], vcc
	s_cbranch_execz .LBB29_38
; %bb.31:                               ;   in Loop: Header=BB29_4 Depth=1
	s_mov_b64 s[52:53], 0
	v_mov_b32_e32 v8, s71
	v_mov_b32_e32 v3, v5
                                        ; implicit-def: $sgpr54_sgpr55
	s_branch .LBB29_33
.LBB29_32:                              ;   in Loop: Header=BB29_33 Depth=2
	s_or_b64 exec, exec, s[60:61]
	s_xor_b64 s[56:57], s[58:59], -1
	s_and_b64 s[10:11], exec, s[10:11]
	s_or_b64 s[52:53], s[10:11], s[52:53]
	s_andn2_b64 s[10:11], s[54:55], exec
	s_and_b64 s[54:55], s[56:57], exec
	s_or_b64 s[54:55], s[10:11], s[54:55]
	s_andn2_b64 exec, exec, s[52:53]
	s_cbranch_execz .LBB29_37
.LBB29_33:                              ;   Parent Loop BB29_4 Depth=1
                                        ; =>  This Inner Loop Header: Depth=2
	v_lshlrev_b64 v[5:6], 2, v[3:4]
	v_add_co_u32_e32 v5, vcc, s25, v5
	v_addc_co_u32_e32 v6, vcc, v8, v6, vcc
	global_load_dword v9, v[5:6], off
	s_waitcnt vmcnt(0)
	v_cmp_u_f32_e64 s[56:57], v9, v9
	v_cmp_o_f32_e32 vcc, v9, v9
	s_and_saveexec_b64 s[58:59], vcc
	s_cbranch_execz .LBB29_35
; %bb.34:                               ;   in Loop: Header=BB29_33 Depth=2
	global_load_dword v5, v[5:6], off offset:4
	s_andn2_b64 s[56:57], s[56:57], exec
	s_waitcnt vmcnt(0)
	v_cmp_u_f32_e32 vcc, v5, v5
	v_cmp_le_f32_e64 s[10:11], v9, v5
	s_or_b64 s[10:11], vcc, s[10:11]
	s_and_b64 s[10:11], s[10:11], exec
	s_or_b64 s[56:57], s[56:57], s[10:11]
.LBB29_35:                              ;   in Loop: Header=BB29_33 Depth=2
	s_or_b64 exec, exec, s[58:59]
	s_mov_b64 s[10:11], -1
	s_mov_b64 s[58:59], -1
	s_and_saveexec_b64 s[60:61], s[56:57]
	s_cbranch_execz .LBB29_32
; %bb.36:                               ;   in Loop: Header=BB29_33 Depth=2
	v_add_u32_e32 v3, s70, v3
	v_cmp_le_u32_e32 vcc, s36, v3
	s_xor_b64 s[58:59], exec, -1
	s_orn2_b64 s[10:11], vcc, exec
	s_branch .LBB29_32
.LBB29_37:                              ;   in Loop: Header=BB29_4 Depth=1
	s_or_b64 exec, exec, s[52:53]
	s_orn2_b64 s[52:53], s[54:55], exec
.LBB29_38:                              ;   in Loop: Header=BB29_4 Depth=1
	s_or_b64 exec, exec, s[50:51]
.LBB29_39:                              ;   in Loop: Header=BB29_4 Depth=1
	s_mov_b64 s[10:11], 0
	s_and_saveexec_b64 s[50:51], s[52:53]
	s_cbranch_execz .LBB29_41
; %bb.40:                               ;   in Loop: Header=BB29_4 Depth=1
	s_mov_b64 s[10:11], exec
	s_barrier
.LBB29_41:                              ;   in Loop: Header=BB29_4 Depth=1
	s_or_b64 exec, exec, s[50:51]
.LBB29_42:                              ;   in Loop: Header=BB29_4 Depth=1
	s_andn2_b64 s[46:47], s[46:47], exec
	s_or_b64 s[44:45], s[44:45], exec
	s_and_saveexec_b64 s[50:51], s[10:11]
	s_cbranch_execz .LBB29_3
; %bb.43:                               ;   in Loop: Header=BB29_4 Depth=1
	s_cmp_lg_u64 s[48:49], 0
	s_cselect_b64 s[10:11], -1, 0
	s_and_b64 s[10:11], s[10:11], s[40:41]
	s_mov_b64 s[52:53], -1
	s_and_b64 vcc, exec, s[10:11]
	s_mov_b64 s[10:11], -1
	s_barrier
	s_cbranch_vccz .LBB29_64
; %bb.44:                               ;   in Loop: Header=BB29_4 Depth=1
	s_load_dwordx2 s[10:11], s[28:29], 0xc
	s_waitcnt lgkmcnt(0)
	s_lshr_b32 s12, s10, 16
	s_and_b32 s10, s10, 0xffff
	v_mul_u32_u24_e32 v3, s10, v1
	s_mul_i32 s10, s12, s10
	v_mul_lo_u32 v5, s10, v2
	s_and_b32 s11, s11, 0xffff
	s_cmp_lt_i32 s69, 0
	s_cselect_b32 s25, s62, s69
	s_cmp_eq_u32 s25, 0
	v_add3_u32 v5, v3, v0, v5
	s_mul_i32 s69, s10, s11
	s_cbranch_scc1 .LBB29_55
; %bb.45:                               ;   in Loop: Header=BB29_4 Depth=1
	s_mov_b32 s36, 0
	v_cmp_eq_u32_e64 s[10:11], 0, v5
	v_cmp_gt_u32_e64 s[12:13], s62, v5
	s_branch .LBB29_47
.LBB29_46:                              ;   in Loop: Header=BB29_47 Depth=2
	s_add_i32 s36, s36, 1
	s_cmp_eq_u32 s36, s25
	s_cbranch_scc1 .LBB29_55
.LBB29_47:                              ;   Parent Loop BB29_4 Depth=1
                                        ; =>  This Loop Header: Depth=2
                                        ;       Child Loop BB29_49 Depth 3
                                        ;         Child Loop BB29_54 Depth 4
	s_lshl_b64 s[54:55], s[36:37], 2
	s_add_u32 s54, s64, s54
	s_addc_u32 s55, s65, s55
	s_barrier
	s_branch .LBB29_49
.LBB29_48:                              ;   in Loop: Header=BB29_49 Depth=3
	s_or_b64 exec, exec, s[56:57]
	s_waitcnt vmcnt(0)
	s_barrier
.LBB29_49:                              ;   Parent Loop BB29_4 Depth=1
                                        ;     Parent Loop BB29_47 Depth=2
                                        ; =>    This Loop Header: Depth=3
                                        ;         Child Loop BB29_54 Depth 4
	global_load_dword v3, v4, s[54:55]
	s_waitcnt vmcnt(0)
	v_cmp_eq_u32_e32 vcc, s36, v3
	v_readfirstlane_b32 s58, v3
	s_cbranch_vccnz .LBB29_46
; %bb.50:                               ;   in Loop: Header=BB29_49 Depth=3
	s_ashr_i32 s59, s58, 31
	s_lshl_b64 s[56:57], s[58:59], 2
	s_add_u32 s56, s64, s56
	s_addc_u32 s57, s65, s57
	global_load_dword v3, v4, s[56:57]
	s_waitcnt vmcnt(0)
	s_barrier
	v_readfirstlane_b32 s70, v3
	s_and_saveexec_b64 s[60:61], s[10:11]
	s_cbranch_execz .LBB29_52
; %bb.51:                               ;   in Loop: Header=BB29_49 Depth=3
	v_mov_b32_e32 v3, s58
	global_store_dword v4, v3, s[56:57]
	v_mov_b32_e32 v3, s70
	global_store_dword v4, v3, s[54:55]
.LBB29_52:                              ;   in Loop: Header=BB29_49 Depth=3
	s_or_b64 exec, exec, s[60:61]
	s_waitcnt vmcnt(0)
	s_barrier
	s_and_saveexec_b64 s[56:57], s[12:13]
	s_cbranch_execz .LBB29_48
; %bb.53:                               ;   in Loop: Header=BB29_49 Depth=3
	s_mul_i32 s59, s59, s68
	s_mul_hi_u32 s60, s58, s68
	s_add_i32 s59, s60, s59
	s_ashr_i32 s60, s70, 31
	s_mul_i32 s58, s58, s68
	s_mul_hi_u32 s61, s70, s68
	s_mul_i32 s60, s60, s68
	s_add_i32 s71, s61, s60
	s_lshl_b64 s[58:59], s[58:59], 3
	s_mul_i32 s70, s70, s68
	s_add_u32 s60, s48, s58
	s_addc_u32 s61, s49, s59
	s_lshl_b64 s[58:59], s[70:71], 3
	s_add_u32 s70, s48, s58
	s_addc_u32 s71, s49, s59
	s_mov_b64 s[58:59], 0
	v_mov_b32_e32 v3, v5
.LBB29_54:                              ;   Parent Loop BB29_4 Depth=1
                                        ;     Parent Loop BB29_47 Depth=2
                                        ;       Parent Loop BB29_49 Depth=3
                                        ; =>      This Inner Loop Header: Depth=4
	v_lshlrev_b64 v[8:9], 3, v[3:4]
	v_mov_b32_e32 v6, s61
	v_add_co_u32_e32 v10, vcc, s60, v8
	v_addc_co_u32_e32 v11, vcc, v6, v9, vcc
	v_mov_b32_e32 v12, s71
	v_add_co_u32_e32 v8, vcc, s70, v8
	v_addc_co_u32_e32 v9, vcc, v12, v9, vcc
	global_load_dwordx2 v[12:13], v[8:9], off
	global_load_dwordx2 v[14:15], v[10:11], off
	v_add_u32_e32 v3, s69, v3
	v_cmp_le_u32_e32 vcc, s62, v3
	s_or_b64 s[58:59], vcc, s[58:59]
	s_waitcnt vmcnt(1)
	global_store_dwordx2 v[10:11], v[12:13], off
	s_waitcnt vmcnt(1)
	global_store_dwordx2 v[8:9], v[14:15], off
	s_andn2_b64 exec, exec, s[58:59]
	s_cbranch_execnz .LBB29_54
	s_branch .LBB29_48
.LBB29_55:                              ;   in Loop: Header=BB29_4 Depth=1
	v_cmp_gt_u32_e32 vcc, s25, v5
	s_mov_b64 s[12:13], -1
	s_barrier
	s_and_saveexec_b64 s[10:11], vcc
	s_cbranch_execz .LBB29_61
; %bb.56:                               ;   in Loop: Header=BB29_4 Depth=1
	s_mov_b64 s[12:13], 0
	v_mov_b32_e32 v3, v5
                                        ; implicit-def: $sgpr48_sgpr49
                                        ; implicit-def: $sgpr56_sgpr57
                                        ; implicit-def: $sgpr54_sgpr55
	s_branch .LBB29_58
.LBB29_57:                              ;   in Loop: Header=BB29_58 Depth=2
	s_or_b64 exec, exec, s[58:59]
	s_xor_b64 s[58:59], s[54:55], -1
	s_and_b64 s[60:61], exec, s[56:57]
	s_or_b64 s[12:13], s[60:61], s[12:13]
	s_andn2_b64 s[48:49], s[48:49], exec
	s_and_b64 s[58:59], s[58:59], exec
	s_or_b64 s[48:49], s[48:49], s[58:59]
	s_andn2_b64 exec, exec, s[12:13]
	s_cbranch_execz .LBB29_60
.LBB29_58:                              ;   Parent Loop BB29_4 Depth=1
                                        ; =>  This Inner Loop Header: Depth=2
	v_lshlrev_b64 v[5:6], 2, v[3:4]
	v_mov_b32_e32 v8, s65
	v_add_co_u32_e32 v5, vcc, s64, v5
	v_addc_co_u32_e32 v6, vcc, v8, v6, vcc
	global_load_dword v5, v[5:6], off
	s_or_b64 s[54:55], s[54:55], exec
	s_or_b64 s[56:57], s[56:57], exec
	s_waitcnt vmcnt(0)
	v_cmp_eq_u32_e32 vcc, v3, v5
	s_and_saveexec_b64 s[58:59], vcc
	s_cbranch_execz .LBB29_57
; %bb.59:                               ;   in Loop: Header=BB29_58 Depth=2
	v_add_u32_e32 v3, s69, v3
	v_cmp_le_u32_e32 vcc, s25, v3
	s_andn2_b64 s[56:57], s[56:57], exec
	s_and_b64 s[60:61], vcc, exec
	s_andn2_b64 s[54:55], s[54:55], exec
	s_or_b64 s[56:57], s[56:57], s[60:61]
	s_branch .LBB29_57
.LBB29_60:                              ;   in Loop: Header=BB29_4 Depth=1
	s_or_b64 exec, exec, s[12:13]
	s_orn2_b64 s[12:13], s[48:49], exec
.LBB29_61:                              ;   in Loop: Header=BB29_4 Depth=1
	s_or_b64 exec, exec, s[10:11]
	s_mov_b64 s[10:11], 0
	s_and_saveexec_b64 s[48:49], s[12:13]
	s_cbranch_execz .LBB29_63
; %bb.62:                               ;   in Loop: Header=BB29_4 Depth=1
	s_mov_b64 s[10:11], exec
	s_barrier
.LBB29_63:                              ;   in Loop: Header=BB29_4 Depth=1
	s_or_b64 exec, exec, s[48:49]
.LBB29_64:                              ;   in Loop: Header=BB29_4 Depth=1
	s_mov_b64 s[48:49], -1
	s_and_saveexec_b64 s[12:13], s[10:11]
	s_cbranch_execz .LBB29_2
; %bb.65:                               ;   in Loop: Header=BB29_4 Depth=1
	s_add_i32 s24, s24, s63
	s_cmp_ge_i32 s24, s33
	s_cselect_b64 s[10:11], -1, 0
	s_xor_b64 s[48:49], exec, -1
	s_orn2_b64 s[52:53], s[10:11], exec
	s_barrier
	s_branch .LBB29_2
.LBB29_66:
	s_or_b64 exec, exec, s[30:31]
	s_xor_b64 s[6:7], s[42:43], -1
	s_mov_b64 s[26:27], 0
	s_and_saveexec_b64 s[8:9], s[6:7]
	s_xor_b64 s[28:29], exec, s[8:9]
	s_cbranch_execnz .LBB29_71
; %bb.67:
	s_andn2_saveexec_b64 s[28:29], s[28:29]
	s_cbranch_execnz .LBB29_74
.LBB29_68:
	s_or_b64 exec, exec, s[28:29]
	s_and_saveexec_b64 s[4:5], s[26:27]
.LBB29_69:
	; divergent unreachable
.LBB29_70:
	s_endpgm
.LBB29_71:
	s_mov_b64 s[6:7], 0
	s_and_saveexec_b64 s[8:9], s[22:23]
	s_xor_b64 s[26:27], exec, s[8:9]
	s_cbranch_execz .LBB29_73
; %bb.72:
	s_add_u32 s8, s4, 0x48
	s_addc_u32 s9, s5, 0
	s_getpc_b64 s[6:7]
	s_add_u32 s6, s6, .str.8@rel32@lo+4
	s_addc_u32 s7, s7, .str.8@rel32@hi+12
	s_getpc_b64 s[10:11]
	s_add_u32 s10, s10, __PRETTY_FUNCTION__._ZN9rocsolver6v33100L12permute_swapI19rocblas_complex_numIfEiEEvT0_PT_S4_PS4_S4_@rel32@lo+4
	s_addc_u32 s11, s11, __PRETTY_FUNCTION__._ZN9rocsolver6v33100L12permute_swapI19rocblas_complex_numIfEiEEvT0_PT_S4_PS4_S4_@rel32@hi+12
	s_getpc_b64 s[12:13]
	s_add_u32 s12, s12, __assert_fail@rel32@lo+4
	s_addc_u32 s13, s13, __assert_fail@rel32@hi+12
	v_mov_b32_e32 v0, s6
	v_mov_b32_e32 v1, s7
	v_mov_b32_e32 v2, 0x25b
	v_mov_b32_e32 v3, s10
	v_mov_b32_e32 v4, s11
	s_mov_b64 s[34:35], s[4:5]
	s_swappc_b64 s[30:31], s[12:13]
	s_mov_b64 s[4:5], s[34:35]
	s_mov_b64 s[6:7], exec
.LBB29_73:
	s_or_b64 exec, exec, s[26:27]
	s_and_b64 s[26:27], s[6:7], exec
	s_andn2_saveexec_b64 s[28:29], s[28:29]
	s_cbranch_execz .LBB29_68
.LBB29_74:
	s_add_u32 s8, s4, 0x48
	s_addc_u32 s9, s5, 0
	s_getpc_b64 s[4:5]
	s_add_u32 s4, s4, .str.5@rel32@lo+4
	s_addc_u32 s5, s5, .str.5@rel32@hi+12
	s_getpc_b64 s[6:7]
	s_add_u32 s6, s6, __PRETTY_FUNCTION__._ZN9rocsolver6v33100L20shell_sort_ascendingIfiEEvT0_PT_PS2_@rel32@lo+4
	s_addc_u32 s7, s7, __PRETTY_FUNCTION__._ZN9rocsolver6v33100L20shell_sort_ascendingIfiEEvT0_PT_PS2_@rel32@hi+12
	s_getpc_b64 s[10:11]
	s_add_u32 s10, s10, __assert_fail@rel32@lo+4
	s_addc_u32 s11, s11, __assert_fail@rel32@hi+12
	v_mov_b32_e32 v0, s4
	v_mov_b32_e32 v1, s5
	v_mov_b32_e32 v2, 0xea
	v_mov_b32_e32 v3, s6
	v_mov_b32_e32 v4, s7
	s_swappc_b64 s[30:31], s[10:11]
	s_or_b64 s[26:27], s[26:27], exec
	s_or_b64 exec, exec, s[28:29]
	s_and_saveexec_b64 s[4:5], s[26:27]
	s_cbranch_execnz .LBB29_69
	s_branch .LBB29_70
	.section	.rodata,"a",@progbits
	.p2align	6, 0x0
	.amdhsa_kernel _ZN9rocsolver6v33100L11stedcj_sortI19rocblas_complex_numIfEfPS3_EEviPT0_lT1_iiliPiS8_
		.amdhsa_group_segment_fixed_size 0
		.amdhsa_private_segment_fixed_size 64
		.amdhsa_kernarg_size 328
		.amdhsa_user_sgpr_count 8
		.amdhsa_user_sgpr_private_segment_buffer 1
		.amdhsa_user_sgpr_dispatch_ptr 0
		.amdhsa_user_sgpr_queue_ptr 0
		.amdhsa_user_sgpr_kernarg_segment_ptr 1
		.amdhsa_user_sgpr_dispatch_id 0
		.amdhsa_user_sgpr_flat_scratch_init 1
		.amdhsa_user_sgpr_private_segment_size 0
		.amdhsa_uses_dynamic_stack 0
		.amdhsa_system_sgpr_private_segment_wavefront_offset 1
		.amdhsa_system_sgpr_workgroup_id_x 1
		.amdhsa_system_sgpr_workgroup_id_y 0
		.amdhsa_system_sgpr_workgroup_id_z 1
		.amdhsa_system_sgpr_workgroup_info 0
		.amdhsa_system_vgpr_workitem_id 2
		.amdhsa_next_free_vgpr 51
		.amdhsa_next_free_sgpr 73
		.amdhsa_reserve_vcc 1
		.amdhsa_reserve_flat_scratch 1
		.amdhsa_float_round_mode_32 0
		.amdhsa_float_round_mode_16_64 0
		.amdhsa_float_denorm_mode_32 3
		.amdhsa_float_denorm_mode_16_64 3
		.amdhsa_dx10_clamp 1
		.amdhsa_ieee_mode 1
		.amdhsa_fp16_overflow 0
		.amdhsa_exception_fp_ieee_invalid_op 0
		.amdhsa_exception_fp_denorm_src 0
		.amdhsa_exception_fp_ieee_div_zero 0
		.amdhsa_exception_fp_ieee_overflow 0
		.amdhsa_exception_fp_ieee_underflow 0
		.amdhsa_exception_fp_ieee_inexact 0
		.amdhsa_exception_int_div_zero 0
	.end_amdhsa_kernel
	.section	.text._ZN9rocsolver6v33100L11stedcj_sortI19rocblas_complex_numIfEfPS3_EEviPT0_lT1_iiliPiS8_,"axG",@progbits,_ZN9rocsolver6v33100L11stedcj_sortI19rocblas_complex_numIfEfPS3_EEviPT0_lT1_iiliPiS8_,comdat
.Lfunc_end29:
	.size	_ZN9rocsolver6v33100L11stedcj_sortI19rocblas_complex_numIfEfPS3_EEviPT0_lT1_iiliPiS8_, .Lfunc_end29-_ZN9rocsolver6v33100L11stedcj_sortI19rocblas_complex_numIfEfPS3_EEviPT0_lT1_iiliPiS8_
                                        ; -- End function
	.set _ZN9rocsolver6v33100L11stedcj_sortI19rocblas_complex_numIfEfPS3_EEviPT0_lT1_iiliPiS8_.num_vgpr, max(16, .L__assert_fail.num_vgpr)
	.set _ZN9rocsolver6v33100L11stedcj_sortI19rocblas_complex_numIfEfPS3_EEviPT0_lT1_iiliPiS8_.num_agpr, max(0, .L__assert_fail.num_agpr)
	.set _ZN9rocsolver6v33100L11stedcj_sortI19rocblas_complex_numIfEfPS3_EEviPT0_lT1_iiliPiS8_.numbered_sgpr, max(73, .L__assert_fail.numbered_sgpr)
	.set _ZN9rocsolver6v33100L11stedcj_sortI19rocblas_complex_numIfEfPS3_EEviPT0_lT1_iiliPiS8_.num_named_barrier, max(0, .L__assert_fail.num_named_barrier)
	.set _ZN9rocsolver6v33100L11stedcj_sortI19rocblas_complex_numIfEfPS3_EEviPT0_lT1_iiliPiS8_.private_seg_size, 0+max(.L__assert_fail.private_seg_size)
	.set _ZN9rocsolver6v33100L11stedcj_sortI19rocblas_complex_numIfEfPS3_EEviPT0_lT1_iiliPiS8_.uses_vcc, or(1, .L__assert_fail.uses_vcc)
	.set _ZN9rocsolver6v33100L11stedcj_sortI19rocblas_complex_numIfEfPS3_EEviPT0_lT1_iiliPiS8_.uses_flat_scratch, or(1, .L__assert_fail.uses_flat_scratch)
	.set _ZN9rocsolver6v33100L11stedcj_sortI19rocblas_complex_numIfEfPS3_EEviPT0_lT1_iiliPiS8_.has_dyn_sized_stack, or(0, .L__assert_fail.has_dyn_sized_stack)
	.set _ZN9rocsolver6v33100L11stedcj_sortI19rocblas_complex_numIfEfPS3_EEviPT0_lT1_iiliPiS8_.has_recursion, or(0, .L__assert_fail.has_recursion)
	.set _ZN9rocsolver6v33100L11stedcj_sortI19rocblas_complex_numIfEfPS3_EEviPT0_lT1_iiliPiS8_.has_indirect_call, or(0, .L__assert_fail.has_indirect_call)
	.section	.AMDGPU.csdata,"",@progbits
; Kernel info:
; codeLenInByte = 2308
; TotalNumSgprs: 79
; NumVgprs: 51
; ScratchSize: 64
; MemoryBound: 0
; FloatMode: 240
; IeeeMode: 1
; LDSByteSize: 0 bytes/workgroup (compile time only)
; SGPRBlocks: 9
; VGPRBlocks: 12
; NumSGPRsForWavesPerEU: 79
; NumVGPRsForWavesPerEU: 51
; Occupancy: 4
; WaveLimiterHint : 1
; COMPUTE_PGM_RSRC2:SCRATCH_EN: 1
; COMPUTE_PGM_RSRC2:USER_SGPR: 8
; COMPUTE_PGM_RSRC2:TRAP_HANDLER: 0
; COMPUTE_PGM_RSRC2:TGID_X_EN: 1
; COMPUTE_PGM_RSRC2:TGID_Y_EN: 0
; COMPUTE_PGM_RSRC2:TGID_Z_EN: 1
; COMPUTE_PGM_RSRC2:TIDIG_COMP_CNT: 2
	.section	.text._ZN9rocsolver6v33100L16reset_batch_infoI19rocblas_complex_numIdEiiPS3_EEvT2_lT0_T1_,"axG",@progbits,_ZN9rocsolver6v33100L16reset_batch_infoI19rocblas_complex_numIdEiiPS3_EEvT2_lT0_T1_,comdat
	.globl	_ZN9rocsolver6v33100L16reset_batch_infoI19rocblas_complex_numIdEiiPS3_EEvT2_lT0_T1_ ; -- Begin function _ZN9rocsolver6v33100L16reset_batch_infoI19rocblas_complex_numIdEiiPS3_EEvT2_lT0_T1_
	.p2align	8
	.type	_ZN9rocsolver6v33100L16reset_batch_infoI19rocblas_complex_numIdEiiPS3_EEvT2_lT0_T1_,@function
_ZN9rocsolver6v33100L16reset_batch_infoI19rocblas_complex_numIdEiiPS3_EEvT2_lT0_T1_: ; @_ZN9rocsolver6v33100L16reset_batch_infoI19rocblas_complex_numIdEiiPS3_EEvT2_lT0_T1_
; %bb.0:
	s_load_dword s2, s[4:5], 0x24
	s_load_dwordx2 s[0:1], s[4:5], 0x10
	s_waitcnt lgkmcnt(0)
	s_and_b32 s2, s2, 0xffff
	s_mul_i32 s6, s6, s2
	v_add_u32_e32 v0, s6, v0
	v_cmp_gt_i32_e32 vcc, s0, v0
	s_and_saveexec_b64 s[2:3], vcc
	s_cbranch_execz .LBB30_2
; %bb.1:
	s_load_dwordx4 s[8:11], s[4:5], 0x0
	s_ashr_i32 s0, s7, 31
	v_ashrrev_i32_e32 v1, 31, v0
	v_lshlrev_b64 v[2:3], 4, v[0:1]
	v_cvt_f64_i32_e32 v[0:1], s1
	s_waitcnt lgkmcnt(0)
	s_mul_hi_u32 s3, s10, s7
	s_mul_i32 s0, s10, s0
	s_mul_i32 s4, s11, s7
	s_add_i32 s0, s3, s0
	s_mul_i32 s2, s10, s7
	s_add_i32 s3, s0, s4
	s_lshl_b64 s[2:3], s[2:3], 4
	s_add_u32 s0, s8, s2
	s_addc_u32 s2, s9, s3
	v_mov_b32_e32 v5, s2
	v_add_co_u32_e32 v4, vcc, s0, v2
	v_mov_b32_e32 v2, 0
	v_addc_co_u32_e32 v5, vcc, v5, v3, vcc
	v_mov_b32_e32 v3, v2
	global_store_dwordx4 v[4:5], v[0:3], off
.LBB30_2:
	s_endpgm
	.section	.rodata,"a",@progbits
	.p2align	6, 0x0
	.amdhsa_kernel _ZN9rocsolver6v33100L16reset_batch_infoI19rocblas_complex_numIdEiiPS3_EEvT2_lT0_T1_
		.amdhsa_group_segment_fixed_size 0
		.amdhsa_private_segment_fixed_size 0
		.amdhsa_kernarg_size 280
		.amdhsa_user_sgpr_count 6
		.amdhsa_user_sgpr_private_segment_buffer 1
		.amdhsa_user_sgpr_dispatch_ptr 0
		.amdhsa_user_sgpr_queue_ptr 0
		.amdhsa_user_sgpr_kernarg_segment_ptr 1
		.amdhsa_user_sgpr_dispatch_id 0
		.amdhsa_user_sgpr_flat_scratch_init 0
		.amdhsa_user_sgpr_private_segment_size 0
		.amdhsa_uses_dynamic_stack 0
		.amdhsa_system_sgpr_private_segment_wavefront_offset 0
		.amdhsa_system_sgpr_workgroup_id_x 1
		.amdhsa_system_sgpr_workgroup_id_y 1
		.amdhsa_system_sgpr_workgroup_id_z 0
		.amdhsa_system_sgpr_workgroup_info 0
		.amdhsa_system_vgpr_workitem_id 0
		.amdhsa_next_free_vgpr 6
		.amdhsa_next_free_sgpr 12
		.amdhsa_reserve_vcc 1
		.amdhsa_reserve_flat_scratch 0
		.amdhsa_float_round_mode_32 0
		.amdhsa_float_round_mode_16_64 0
		.amdhsa_float_denorm_mode_32 3
		.amdhsa_float_denorm_mode_16_64 3
		.amdhsa_dx10_clamp 1
		.amdhsa_ieee_mode 1
		.amdhsa_fp16_overflow 0
		.amdhsa_exception_fp_ieee_invalid_op 0
		.amdhsa_exception_fp_denorm_src 0
		.amdhsa_exception_fp_ieee_div_zero 0
		.amdhsa_exception_fp_ieee_overflow 0
		.amdhsa_exception_fp_ieee_underflow 0
		.amdhsa_exception_fp_ieee_inexact 0
		.amdhsa_exception_int_div_zero 0
	.end_amdhsa_kernel
	.section	.text._ZN9rocsolver6v33100L16reset_batch_infoI19rocblas_complex_numIdEiiPS3_EEvT2_lT0_T1_,"axG",@progbits,_ZN9rocsolver6v33100L16reset_batch_infoI19rocblas_complex_numIdEiiPS3_EEvT2_lT0_T1_,comdat
.Lfunc_end30:
	.size	_ZN9rocsolver6v33100L16reset_batch_infoI19rocblas_complex_numIdEiiPS3_EEvT2_lT0_T1_, .Lfunc_end30-_ZN9rocsolver6v33100L16reset_batch_infoI19rocblas_complex_numIdEiiPS3_EEvT2_lT0_T1_
                                        ; -- End function
	.set _ZN9rocsolver6v33100L16reset_batch_infoI19rocblas_complex_numIdEiiPS3_EEvT2_lT0_T1_.num_vgpr, 6
	.set _ZN9rocsolver6v33100L16reset_batch_infoI19rocblas_complex_numIdEiiPS3_EEvT2_lT0_T1_.num_agpr, 0
	.set _ZN9rocsolver6v33100L16reset_batch_infoI19rocblas_complex_numIdEiiPS3_EEvT2_lT0_T1_.numbered_sgpr, 12
	.set _ZN9rocsolver6v33100L16reset_batch_infoI19rocblas_complex_numIdEiiPS3_EEvT2_lT0_T1_.num_named_barrier, 0
	.set _ZN9rocsolver6v33100L16reset_batch_infoI19rocblas_complex_numIdEiiPS3_EEvT2_lT0_T1_.private_seg_size, 0
	.set _ZN9rocsolver6v33100L16reset_batch_infoI19rocblas_complex_numIdEiiPS3_EEvT2_lT0_T1_.uses_vcc, 1
	.set _ZN9rocsolver6v33100L16reset_batch_infoI19rocblas_complex_numIdEiiPS3_EEvT2_lT0_T1_.uses_flat_scratch, 0
	.set _ZN9rocsolver6v33100L16reset_batch_infoI19rocblas_complex_numIdEiiPS3_EEvT2_lT0_T1_.has_dyn_sized_stack, 0
	.set _ZN9rocsolver6v33100L16reset_batch_infoI19rocblas_complex_numIdEiiPS3_EEvT2_lT0_T1_.has_recursion, 0
	.set _ZN9rocsolver6v33100L16reset_batch_infoI19rocblas_complex_numIdEiiPS3_EEvT2_lT0_T1_.has_indirect_call, 0
	.section	.AMDGPU.csdata,"",@progbits
; Kernel info:
; codeLenInByte = 148
; TotalNumSgprs: 16
; NumVgprs: 6
; ScratchSize: 0
; MemoryBound: 0
; FloatMode: 240
; IeeeMode: 1
; LDSByteSize: 0 bytes/workgroup (compile time only)
; SGPRBlocks: 1
; VGPRBlocks: 1
; NumSGPRsForWavesPerEU: 16
; NumVGPRsForWavesPerEU: 6
; Occupancy: 10
; WaveLimiterHint : 0
; COMPUTE_PGM_RSRC2:SCRATCH_EN: 0
; COMPUTE_PGM_RSRC2:USER_SGPR: 6
; COMPUTE_PGM_RSRC2:TRAP_HANDLER: 0
; COMPUTE_PGM_RSRC2:TGID_X_EN: 1
; COMPUTE_PGM_RSRC2:TGID_Y_EN: 1
; COMPUTE_PGM_RSRC2:TGID_Z_EN: 0
; COMPUTE_PGM_RSRC2:TIDIG_COMP_CNT: 0
	.section	.text._ZN9rocsolver6v33100L10init_identI19rocblas_complex_numIdEPS3_EEviiT0_iil,"axG",@progbits,_ZN9rocsolver6v33100L10init_identI19rocblas_complex_numIdEPS3_EEviiT0_iil,comdat
	.globl	_ZN9rocsolver6v33100L10init_identI19rocblas_complex_numIdEPS3_EEviiT0_iil ; -- Begin function _ZN9rocsolver6v33100L10init_identI19rocblas_complex_numIdEPS3_EEviiT0_iil
	.p2align	8
	.type	_ZN9rocsolver6v33100L10init_identI19rocblas_complex_numIdEPS3_EEviiT0_iil,@function
_ZN9rocsolver6v33100L10init_identI19rocblas_complex_numIdEPS3_EEviiT0_iil: ; @_ZN9rocsolver6v33100L10init_identI19rocblas_complex_numIdEPS3_EEviiT0_iil
; %bb.0:
	s_load_dword s2, s[4:5], 0x2c
	s_load_dwordx2 s[0:1], s[4:5], 0x0
	s_waitcnt lgkmcnt(0)
	s_lshr_b32 s3, s2, 16
	s_and_b32 s2, s2, 0xffff
	s_mul_i32 s6, s6, s2
	s_mul_i32 s7, s7, s3
	v_add_u32_e32 v3, s6, v0
	v_add_u32_e32 v0, s7, v1
	v_cmp_gt_u32_e32 vcc, s0, v3
	v_cmp_gt_u32_e64 s[0:1], s1, v0
	s_and_b64 s[0:1], vcc, s[0:1]
	s_and_saveexec_b64 s[2:3], s[0:1]
	s_cbranch_execz .LBB31_6
; %bb.1:
	s_load_dwordx2 s[0:1], s[4:5], 0x10
	v_cmp_ne_u32_e32 vcc, v3, v0
                                        ; implicit-def: $vgpr2
	s_and_saveexec_b64 s[2:3], vcc
	s_xor_b64 s[2:3], exec, s[2:3]
	s_cbranch_execz .LBB31_3
; %bb.2:
	s_waitcnt lgkmcnt(0)
	v_mad_u64_u32 v[2:3], s[6:7], v0, s1, v[3:4]
                                        ; implicit-def: $vgpr3
.LBB31_3:
	s_or_saveexec_b64 s[2:3], s[2:3]
	v_mov_b32_e32 v0, 0
	v_mov_b32_e32 v1, 0
	s_xor_b64 exec, exec, s[2:3]
	s_cbranch_execz .LBB31_5
; %bb.4:
	s_waitcnt lgkmcnt(0)
	v_mad_u64_u32 v[2:3], s[6:7], v3, s1, v[3:4]
	v_mov_b32_e32 v0, 0
	v_mov_b32_e32 v1, 0x3ff00000
.LBB31_5:
	s_or_b64 exec, exec, s[2:3]
	s_load_dwordx2 s[2:3], s[4:5], 0x18
	s_load_dwordx2 s[6:7], s[4:5], 0x8
	s_waitcnt lgkmcnt(0)
	s_ashr_i32 s1, s0, 31
	v_mov_b32_e32 v3, 0
	v_lshlrev_b64 v[4:5], 4, v[2:3]
	s_mul_i32 s3, s3, s8
	s_mul_hi_u32 s4, s2, s8
	s_mul_i32 s2, s2, s8
	s_add_i32 s3, s4, s3
	s_lshl_b64 s[2:3], s[2:3], 4
	s_add_u32 s2, s6, s2
	s_addc_u32 s3, s7, s3
	s_lshl_b64 s[0:1], s[0:1], 4
	s_add_u32 s0, s2, s0
	s_addc_u32 s1, s3, s1
	v_mov_b32_e32 v2, s1
	v_add_co_u32_e32 v4, vcc, s0, v4
	v_addc_co_u32_e32 v5, vcc, v2, v5, vcc
	v_mov_b32_e32 v2, v3
	global_store_dwordx4 v[4:5], v[0:3], off
.LBB31_6:
	s_endpgm
	.section	.rodata,"a",@progbits
	.p2align	6, 0x0
	.amdhsa_kernel _ZN9rocsolver6v33100L10init_identI19rocblas_complex_numIdEPS3_EEviiT0_iil
		.amdhsa_group_segment_fixed_size 0
		.amdhsa_private_segment_fixed_size 0
		.amdhsa_kernarg_size 288
		.amdhsa_user_sgpr_count 6
		.amdhsa_user_sgpr_private_segment_buffer 1
		.amdhsa_user_sgpr_dispatch_ptr 0
		.amdhsa_user_sgpr_queue_ptr 0
		.amdhsa_user_sgpr_kernarg_segment_ptr 1
		.amdhsa_user_sgpr_dispatch_id 0
		.amdhsa_user_sgpr_flat_scratch_init 0
		.amdhsa_user_sgpr_private_segment_size 0
		.amdhsa_uses_dynamic_stack 0
		.amdhsa_system_sgpr_private_segment_wavefront_offset 0
		.amdhsa_system_sgpr_workgroup_id_x 1
		.amdhsa_system_sgpr_workgroup_id_y 1
		.amdhsa_system_sgpr_workgroup_id_z 1
		.amdhsa_system_sgpr_workgroup_info 0
		.amdhsa_system_vgpr_workitem_id 1
		.amdhsa_next_free_vgpr 6
		.amdhsa_next_free_sgpr 9
		.amdhsa_reserve_vcc 1
		.amdhsa_reserve_flat_scratch 0
		.amdhsa_float_round_mode_32 0
		.amdhsa_float_round_mode_16_64 0
		.amdhsa_float_denorm_mode_32 3
		.amdhsa_float_denorm_mode_16_64 3
		.amdhsa_dx10_clamp 1
		.amdhsa_ieee_mode 1
		.amdhsa_fp16_overflow 0
		.amdhsa_exception_fp_ieee_invalid_op 0
		.amdhsa_exception_fp_denorm_src 0
		.amdhsa_exception_fp_ieee_div_zero 0
		.amdhsa_exception_fp_ieee_overflow 0
		.amdhsa_exception_fp_ieee_underflow 0
		.amdhsa_exception_fp_ieee_inexact 0
		.amdhsa_exception_int_div_zero 0
	.end_amdhsa_kernel
	.section	.text._ZN9rocsolver6v33100L10init_identI19rocblas_complex_numIdEPS3_EEviiT0_iil,"axG",@progbits,_ZN9rocsolver6v33100L10init_identI19rocblas_complex_numIdEPS3_EEviiT0_iil,comdat
.Lfunc_end31:
	.size	_ZN9rocsolver6v33100L10init_identI19rocblas_complex_numIdEPS3_EEviiT0_iil, .Lfunc_end31-_ZN9rocsolver6v33100L10init_identI19rocblas_complex_numIdEPS3_EEviiT0_iil
                                        ; -- End function
	.set _ZN9rocsolver6v33100L10init_identI19rocblas_complex_numIdEPS3_EEviiT0_iil.num_vgpr, 6
	.set _ZN9rocsolver6v33100L10init_identI19rocblas_complex_numIdEPS3_EEviiT0_iil.num_agpr, 0
	.set _ZN9rocsolver6v33100L10init_identI19rocblas_complex_numIdEPS3_EEviiT0_iil.numbered_sgpr, 9
	.set _ZN9rocsolver6v33100L10init_identI19rocblas_complex_numIdEPS3_EEviiT0_iil.num_named_barrier, 0
	.set _ZN9rocsolver6v33100L10init_identI19rocblas_complex_numIdEPS3_EEviiT0_iil.private_seg_size, 0
	.set _ZN9rocsolver6v33100L10init_identI19rocblas_complex_numIdEPS3_EEviiT0_iil.uses_vcc, 1
	.set _ZN9rocsolver6v33100L10init_identI19rocblas_complex_numIdEPS3_EEviiT0_iil.uses_flat_scratch, 0
	.set _ZN9rocsolver6v33100L10init_identI19rocblas_complex_numIdEPS3_EEviiT0_iil.has_dyn_sized_stack, 0
	.set _ZN9rocsolver6v33100L10init_identI19rocblas_complex_numIdEPS3_EEviiT0_iil.has_recursion, 0
	.set _ZN9rocsolver6v33100L10init_identI19rocblas_complex_numIdEPS3_EEviiT0_iil.has_indirect_call, 0
	.section	.AMDGPU.csdata,"",@progbits
; Kernel info:
; codeLenInByte = 260
; TotalNumSgprs: 13
; NumVgprs: 6
; ScratchSize: 0
; MemoryBound: 0
; FloatMode: 240
; IeeeMode: 1
; LDSByteSize: 0 bytes/workgroup (compile time only)
; SGPRBlocks: 1
; VGPRBlocks: 1
; NumSGPRsForWavesPerEU: 13
; NumVGPRsForWavesPerEU: 6
; Occupancy: 10
; WaveLimiterHint : 0
; COMPUTE_PGM_RSRC2:SCRATCH_EN: 0
; COMPUTE_PGM_RSRC2:USER_SGPR: 6
; COMPUTE_PGM_RSRC2:TRAP_HANDLER: 0
; COMPUTE_PGM_RSRC2:TGID_X_EN: 1
; COMPUTE_PGM_RSRC2:TGID_Y_EN: 1
; COMPUTE_PGM_RSRC2:TGID_Z_EN: 1
; COMPUTE_PGM_RSRC2:TIDIG_COMP_CNT: 1
	.section	.text._ZN9rocsolver6v33100L8copy_matI19rocblas_complex_numIdEdLb1EPS3_TnNSt9enable_ifIX18rocblas_is_complexIT_EEiE4typeELi0EEEvNS0_17copymat_directionEiiT2_iilPT0_13rocblas_fill_17rocblas_diagonal_,"axG",@progbits,_ZN9rocsolver6v33100L8copy_matI19rocblas_complex_numIdEdLb1EPS3_TnNSt9enable_ifIX18rocblas_is_complexIT_EEiE4typeELi0EEEvNS0_17copymat_directionEiiT2_iilPT0_13rocblas_fill_17rocblas_diagonal_,comdat
	.globl	_ZN9rocsolver6v33100L8copy_matI19rocblas_complex_numIdEdLb1EPS3_TnNSt9enable_ifIX18rocblas_is_complexIT_EEiE4typeELi0EEEvNS0_17copymat_directionEiiT2_iilPT0_13rocblas_fill_17rocblas_diagonal_ ; -- Begin function _ZN9rocsolver6v33100L8copy_matI19rocblas_complex_numIdEdLb1EPS3_TnNSt9enable_ifIX18rocblas_is_complexIT_EEiE4typeELi0EEEvNS0_17copymat_directionEiiT2_iilPT0_13rocblas_fill_17rocblas_diagonal_
	.p2align	8
	.type	_ZN9rocsolver6v33100L8copy_matI19rocblas_complex_numIdEdLb1EPS3_TnNSt9enable_ifIX18rocblas_is_complexIT_EEiE4typeELi0EEEvNS0_17copymat_directionEiiT2_iilPT0_13rocblas_fill_17rocblas_diagonal_,@function
_ZN9rocsolver6v33100L8copy_matI19rocblas_complex_numIdEdLb1EPS3_TnNSt9enable_ifIX18rocblas_is_complexIT_EEiE4typeELi0EEEvNS0_17copymat_directionEiiT2_iilPT0_13rocblas_fill_17rocblas_diagonal_: ; @_ZN9rocsolver6v33100L8copy_matI19rocblas_complex_numIdEdLb1EPS3_TnNSt9enable_ifIX18rocblas_is_complexIT_EEiE4typeELi0EEEvNS0_17copymat_directionEiiT2_iilPT0_13rocblas_fill_17rocblas_diagonal_
; %bb.0:
	s_load_dwordx4 s[20:23], s[4:5], 0x0
	s_load_dword s0, s[4:5], 0x44
	s_waitcnt lgkmcnt(0)
	s_lshr_b32 s1, s0, 16
	s_and_b32 s0, s0, 0xffff
	s_mul_i32 s7, s7, s1
	s_mul_i32 s6, s6, s0
	v_add_u32_e32 v1, s7, v1
	v_add_u32_e32 v0, s6, v0
	v_cmp_gt_u32_e32 vcc, s21, v0
	v_cmp_gt_u32_e64 s[0:1], s22, v1
	s_and_b64 s[0:1], s[0:1], vcc
	s_and_saveexec_b64 s[2:3], s[0:1]
	s_cbranch_execz .LBB32_16
; %bb.1:
	s_load_dwordx2 s[2:3], s[4:5], 0x30
	s_mov_b32 s9, s21
	s_waitcnt lgkmcnt(0)
	s_cmpk_lt_i32 s2, 0x7a
	s_cbranch_scc1 .LBB32_4
; %bb.2:
	s_cmpk_gt_i32 s2, 0x7a
	s_cbranch_scc0 .LBB32_5
; %bb.3:
	s_cmpk_lg_i32 s2, 0x7b
	s_mov_b64 s[6:7], -1
	s_cselect_b64 s[10:11], -1, 0
	s_cbranch_execz .LBB32_6
	s_branch .LBB32_7
.LBB32_4:
	s_mov_b64 s[10:11], 0
	s_mov_b64 s[6:7], 0
	s_cbranch_execnz .LBB32_8
	s_branch .LBB32_10
.LBB32_5:
	s_mov_b64 s[6:7], 0
	s_mov_b64 s[10:11], 0
.LBB32_6:
	v_cmp_gt_u32_e32 vcc, v0, v1
	v_cmp_le_u32_e64 s[0:1], v0, v1
	s_andn2_b64 s[6:7], s[6:7], exec
	s_and_b64 s[12:13], vcc, exec
	s_andn2_b64 s[10:11], s[10:11], exec
	s_and_b64 s[0:1], s[0:1], exec
	s_or_b64 s[6:7], s[6:7], s[12:13]
	s_or_b64 s[10:11], s[10:11], s[0:1]
.LBB32_7:
	s_branch .LBB32_10
.LBB32_8:
	s_cmpk_eq_i32 s2, 0x79
	s_mov_b64 s[10:11], -1
	s_cbranch_scc0 .LBB32_10
; %bb.9:
	v_cmp_gt_u32_e32 vcc, v1, v0
	v_cmp_le_u32_e64 s[0:1], v1, v0
	s_andn2_b64 s[6:7], s[6:7], exec
	s_and_b64 s[10:11], vcc, exec
	s_or_b64 s[6:7], s[6:7], s[10:11]
	s_orn2_b64 s[10:11], s[0:1], exec
.LBB32_10:
	s_and_saveexec_b64 s[0:1], s[10:11]
; %bb.11:
	s_cmpk_eq_i32 s3, 0x83
	s_cselect_b64 s[2:3], -1, 0
	v_cmp_eq_u32_e32 vcc, v0, v1
	s_and_b64 s[2:3], s[2:3], vcc
	s_andn2_b64 s[6:7], s[6:7], exec
	s_and_b64 s[2:3], s[2:3], exec
	s_or_b64 s[6:7], s[6:7], s[2:3]
; %bb.12:
	s_or_b64 exec, exec, s[0:1]
	s_and_b64 exec, exec, s[6:7]
	s_cbranch_execz .LBB32_16
; %bb.13:
	s_load_dwordx8 s[12:19], s[4:5], 0x10
	s_ashr_i32 s4, s21, 31
	s_ashr_i32 s5, s22, 31
	s_mul_i32 s4, s4, s8
	s_waitcnt lgkmcnt(0)
	s_mul_i32 s2, s17, s8
	s_mul_hi_u32 s3, s16, s8
	s_add_i32 s3, s3, s2
	s_mul_i32 s2, s16, s8
	s_ashr_i32 s1, s14, 31
	s_lshl_b64 s[2:3], s[2:3], 4
	s_mov_b32 s0, s14
	s_add_u32 s2, s12, s2
	s_addc_u32 s3, s13, s3
	s_lshl_b64 s[0:1], s[0:1], 4
	s_add_u32 s2, s2, s0
	s_mul_hi_u32 s0, s21, s8
	s_addc_u32 s3, s3, s1
	s_add_i32 s0, s0, s4
	s_mul_i32 s4, s21, s8
	s_mul_i32 s1, s4, s5
	s_mul_hi_u32 s5, s4, s22
	s_add_i32 s1, s5, s1
	s_mul_i32 s0, s0, s22
	s_add_i32 s1, s1, s0
	s_mul_i32 s0, s4, s22
	s_lshl_b64 s[0:1], s[0:1], 3
	s_add_u32 s4, s18, s0
	s_addc_u32 s5, s19, s1
	s_cmp_lg_u32 s20, 0
	s_cbranch_scc0 .LBB32_17
; %bb.14:
	v_mad_u64_u32 v[2:3], s[0:1], v1, s9, v[0:1]
	v_mov_b32_e32 v3, 0
	v_mov_b32_e32 v6, s5
	v_lshlrev_b64 v[4:5], 3, v[2:3]
	v_mov_b32_e32 v8, s3
	v_add_co_u32_e32 v4, vcc, s4, v4
	v_addc_co_u32_e32 v5, vcc, v6, v5, vcc
	global_load_dwordx2 v[4:5], v[4:5], off
	v_mad_u64_u32 v[6:7], s[0:1], v1, s15, v[0:1]
	v_mov_b32_e32 v7, v3
	v_lshlrev_b64 v[2:3], 4, v[6:7]
	v_add_co_u32_e32 v2, vcc, s2, v2
	v_addc_co_u32_e32 v3, vcc, v8, v3, vcc
	s_waitcnt vmcnt(0)
	global_store_dwordx2 v[2:3], v[4:5], off
	s_cbranch_execnz .LBB32_16
.LBB32_15:
	v_mad_u64_u32 v[2:3], s[0:1], v1, s15, v[0:1]
	v_mov_b32_e32 v3, 0
	v_mov_b32_e32 v6, s3
	v_lshlrev_b64 v[4:5], 4, v[2:3]
	v_mad_u64_u32 v[0:1], s[0:1], v1, s9, v[0:1]
	v_add_co_u32_e32 v4, vcc, s2, v4
	v_addc_co_u32_e32 v5, vcc, v6, v5, vcc
	global_load_dwordx2 v[4:5], v[4:5], off
	v_mov_b32_e32 v1, v3
	v_lshlrev_b64 v[0:1], 3, v[0:1]
	v_mov_b32_e32 v2, s5
	v_add_co_u32_e32 v0, vcc, s4, v0
	v_addc_co_u32_e32 v1, vcc, v2, v1, vcc
	s_waitcnt vmcnt(0)
	global_store_dwordx2 v[0:1], v[4:5], off
.LBB32_16:
	s_endpgm
.LBB32_17:
	s_branch .LBB32_15
	.section	.rodata,"a",@progbits
	.p2align	6, 0x0
	.amdhsa_kernel _ZN9rocsolver6v33100L8copy_matI19rocblas_complex_numIdEdLb1EPS3_TnNSt9enable_ifIX18rocblas_is_complexIT_EEiE4typeELi0EEEvNS0_17copymat_directionEiiT2_iilPT0_13rocblas_fill_17rocblas_diagonal_
		.amdhsa_group_segment_fixed_size 0
		.amdhsa_private_segment_fixed_size 0
		.amdhsa_kernarg_size 312
		.amdhsa_user_sgpr_count 6
		.amdhsa_user_sgpr_private_segment_buffer 1
		.amdhsa_user_sgpr_dispatch_ptr 0
		.amdhsa_user_sgpr_queue_ptr 0
		.amdhsa_user_sgpr_kernarg_segment_ptr 1
		.amdhsa_user_sgpr_dispatch_id 0
		.amdhsa_user_sgpr_flat_scratch_init 0
		.amdhsa_user_sgpr_private_segment_size 0
		.amdhsa_uses_dynamic_stack 0
		.amdhsa_system_sgpr_private_segment_wavefront_offset 0
		.amdhsa_system_sgpr_workgroup_id_x 1
		.amdhsa_system_sgpr_workgroup_id_y 1
		.amdhsa_system_sgpr_workgroup_id_z 1
		.amdhsa_system_sgpr_workgroup_info 0
		.amdhsa_system_vgpr_workitem_id 1
		.amdhsa_next_free_vgpr 9
		.amdhsa_next_free_sgpr 24
		.amdhsa_reserve_vcc 1
		.amdhsa_reserve_flat_scratch 0
		.amdhsa_float_round_mode_32 0
		.amdhsa_float_round_mode_16_64 0
		.amdhsa_float_denorm_mode_32 3
		.amdhsa_float_denorm_mode_16_64 3
		.amdhsa_dx10_clamp 1
		.amdhsa_ieee_mode 1
		.amdhsa_fp16_overflow 0
		.amdhsa_exception_fp_ieee_invalid_op 0
		.amdhsa_exception_fp_denorm_src 0
		.amdhsa_exception_fp_ieee_div_zero 0
		.amdhsa_exception_fp_ieee_overflow 0
		.amdhsa_exception_fp_ieee_underflow 0
		.amdhsa_exception_fp_ieee_inexact 0
		.amdhsa_exception_int_div_zero 0
	.end_amdhsa_kernel
	.section	.text._ZN9rocsolver6v33100L8copy_matI19rocblas_complex_numIdEdLb1EPS3_TnNSt9enable_ifIX18rocblas_is_complexIT_EEiE4typeELi0EEEvNS0_17copymat_directionEiiT2_iilPT0_13rocblas_fill_17rocblas_diagonal_,"axG",@progbits,_ZN9rocsolver6v33100L8copy_matI19rocblas_complex_numIdEdLb1EPS3_TnNSt9enable_ifIX18rocblas_is_complexIT_EEiE4typeELi0EEEvNS0_17copymat_directionEiiT2_iilPT0_13rocblas_fill_17rocblas_diagonal_,comdat
.Lfunc_end32:
	.size	_ZN9rocsolver6v33100L8copy_matI19rocblas_complex_numIdEdLb1EPS3_TnNSt9enable_ifIX18rocblas_is_complexIT_EEiE4typeELi0EEEvNS0_17copymat_directionEiiT2_iilPT0_13rocblas_fill_17rocblas_diagonal_, .Lfunc_end32-_ZN9rocsolver6v33100L8copy_matI19rocblas_complex_numIdEdLb1EPS3_TnNSt9enable_ifIX18rocblas_is_complexIT_EEiE4typeELi0EEEvNS0_17copymat_directionEiiT2_iilPT0_13rocblas_fill_17rocblas_diagonal_
                                        ; -- End function
	.set _ZN9rocsolver6v33100L8copy_matI19rocblas_complex_numIdEdLb1EPS3_TnNSt9enable_ifIX18rocblas_is_complexIT_EEiE4typeELi0EEEvNS0_17copymat_directionEiiT2_iilPT0_13rocblas_fill_17rocblas_diagonal_.num_vgpr, 9
	.set _ZN9rocsolver6v33100L8copy_matI19rocblas_complex_numIdEdLb1EPS3_TnNSt9enable_ifIX18rocblas_is_complexIT_EEiE4typeELi0EEEvNS0_17copymat_directionEiiT2_iilPT0_13rocblas_fill_17rocblas_diagonal_.num_agpr, 0
	.set _ZN9rocsolver6v33100L8copy_matI19rocblas_complex_numIdEdLb1EPS3_TnNSt9enable_ifIX18rocblas_is_complexIT_EEiE4typeELi0EEEvNS0_17copymat_directionEiiT2_iilPT0_13rocblas_fill_17rocblas_diagonal_.numbered_sgpr, 24
	.set _ZN9rocsolver6v33100L8copy_matI19rocblas_complex_numIdEdLb1EPS3_TnNSt9enable_ifIX18rocblas_is_complexIT_EEiE4typeELi0EEEvNS0_17copymat_directionEiiT2_iilPT0_13rocblas_fill_17rocblas_diagonal_.num_named_barrier, 0
	.set _ZN9rocsolver6v33100L8copy_matI19rocblas_complex_numIdEdLb1EPS3_TnNSt9enable_ifIX18rocblas_is_complexIT_EEiE4typeELi0EEEvNS0_17copymat_directionEiiT2_iilPT0_13rocblas_fill_17rocblas_diagonal_.private_seg_size, 0
	.set _ZN9rocsolver6v33100L8copy_matI19rocblas_complex_numIdEdLb1EPS3_TnNSt9enable_ifIX18rocblas_is_complexIT_EEiE4typeELi0EEEvNS0_17copymat_directionEiiT2_iilPT0_13rocblas_fill_17rocblas_diagonal_.uses_vcc, 1
	.set _ZN9rocsolver6v33100L8copy_matI19rocblas_complex_numIdEdLb1EPS3_TnNSt9enable_ifIX18rocblas_is_complexIT_EEiE4typeELi0EEEvNS0_17copymat_directionEiiT2_iilPT0_13rocblas_fill_17rocblas_diagonal_.uses_flat_scratch, 0
	.set _ZN9rocsolver6v33100L8copy_matI19rocblas_complex_numIdEdLb1EPS3_TnNSt9enable_ifIX18rocblas_is_complexIT_EEiE4typeELi0EEEvNS0_17copymat_directionEiiT2_iilPT0_13rocblas_fill_17rocblas_diagonal_.has_dyn_sized_stack, 0
	.set _ZN9rocsolver6v33100L8copy_matI19rocblas_complex_numIdEdLb1EPS3_TnNSt9enable_ifIX18rocblas_is_complexIT_EEiE4typeELi0EEEvNS0_17copymat_directionEiiT2_iilPT0_13rocblas_fill_17rocblas_diagonal_.has_recursion, 0
	.set _ZN9rocsolver6v33100L8copy_matI19rocblas_complex_numIdEdLb1EPS3_TnNSt9enable_ifIX18rocblas_is_complexIT_EEiE4typeELi0EEEvNS0_17copymat_directionEiiT2_iilPT0_13rocblas_fill_17rocblas_diagonal_.has_indirect_call, 0
	.section	.AMDGPU.csdata,"",@progbits
; Kernel info:
; codeLenInByte = 580
; TotalNumSgprs: 28
; NumVgprs: 9
; ScratchSize: 0
; MemoryBound: 0
; FloatMode: 240
; IeeeMode: 1
; LDSByteSize: 0 bytes/workgroup (compile time only)
; SGPRBlocks: 3
; VGPRBlocks: 2
; NumSGPRsForWavesPerEU: 28
; NumVGPRsForWavesPerEU: 9
; Occupancy: 10
; WaveLimiterHint : 0
; COMPUTE_PGM_RSRC2:SCRATCH_EN: 0
; COMPUTE_PGM_RSRC2:USER_SGPR: 6
; COMPUTE_PGM_RSRC2:TRAP_HANDLER: 0
; COMPUTE_PGM_RSRC2:TGID_X_EN: 1
; COMPUTE_PGM_RSRC2:TGID_Y_EN: 1
; COMPUTE_PGM_RSRC2:TGID_Z_EN: 1
; COMPUTE_PGM_RSRC2:TIDIG_COMP_CNT: 1
	.section	.text._ZN9rocsolver6v33100L8copy_matI19rocblas_complex_numIdEdLb0EPS3_TnNSt9enable_ifIX18rocblas_is_complexIT_EEiE4typeELi0EEEvNS0_17copymat_directionEiiT2_iilPT0_13rocblas_fill_17rocblas_diagonal_,"axG",@progbits,_ZN9rocsolver6v33100L8copy_matI19rocblas_complex_numIdEdLb0EPS3_TnNSt9enable_ifIX18rocblas_is_complexIT_EEiE4typeELi0EEEvNS0_17copymat_directionEiiT2_iilPT0_13rocblas_fill_17rocblas_diagonal_,comdat
	.globl	_ZN9rocsolver6v33100L8copy_matI19rocblas_complex_numIdEdLb0EPS3_TnNSt9enable_ifIX18rocblas_is_complexIT_EEiE4typeELi0EEEvNS0_17copymat_directionEiiT2_iilPT0_13rocblas_fill_17rocblas_diagonal_ ; -- Begin function _ZN9rocsolver6v33100L8copy_matI19rocblas_complex_numIdEdLb0EPS3_TnNSt9enable_ifIX18rocblas_is_complexIT_EEiE4typeELi0EEEvNS0_17copymat_directionEiiT2_iilPT0_13rocblas_fill_17rocblas_diagonal_
	.p2align	8
	.type	_ZN9rocsolver6v33100L8copy_matI19rocblas_complex_numIdEdLb0EPS3_TnNSt9enable_ifIX18rocblas_is_complexIT_EEiE4typeELi0EEEvNS0_17copymat_directionEiiT2_iilPT0_13rocblas_fill_17rocblas_diagonal_,@function
_ZN9rocsolver6v33100L8copy_matI19rocblas_complex_numIdEdLb0EPS3_TnNSt9enable_ifIX18rocblas_is_complexIT_EEiE4typeELi0EEEvNS0_17copymat_directionEiiT2_iilPT0_13rocblas_fill_17rocblas_diagonal_: ; @_ZN9rocsolver6v33100L8copy_matI19rocblas_complex_numIdEdLb0EPS3_TnNSt9enable_ifIX18rocblas_is_complexIT_EEiE4typeELi0EEEvNS0_17copymat_directionEiiT2_iilPT0_13rocblas_fill_17rocblas_diagonal_
; %bb.0:
	s_load_dwordx4 s[12:15], s[4:5], 0x0
	s_load_dword s0, s[4:5], 0x44
	s_waitcnt lgkmcnt(0)
	s_lshr_b32 s1, s0, 16
	s_and_b32 s0, s0, 0xffff
	s_mul_i32 s7, s7, s1
	s_mul_i32 s6, s6, s0
	v_add_u32_e32 v4, s7, v1
	v_add_u32_e32 v0, s6, v0
	v_cmp_gt_u32_e32 vcc, s13, v0
	v_cmp_gt_u32_e64 s[0:1], s14, v4
	s_and_b64 s[0:1], s[0:1], vcc
	s_and_saveexec_b64 s[2:3], s[0:1]
	s_cbranch_execz .LBB33_16
; %bb.1:
	s_load_dwordx2 s[2:3], s[4:5], 0x30
	s_mov_b32 s9, s13
	s_waitcnt lgkmcnt(0)
	s_cmpk_lt_i32 s2, 0x7a
	s_cbranch_scc1 .LBB33_4
; %bb.2:
	s_cmpk_gt_i32 s2, 0x7a
	s_cbranch_scc0 .LBB33_5
; %bb.3:
	s_cmpk_lg_i32 s2, 0x7b
	s_mov_b64 s[6:7], -1
	s_cselect_b64 s[10:11], -1, 0
	s_cbranch_execz .LBB33_6
	s_branch .LBB33_7
.LBB33_4:
	s_mov_b64 s[10:11], 0
	s_mov_b64 s[6:7], 0
	s_cbranch_execnz .LBB33_8
	s_branch .LBB33_10
.LBB33_5:
	s_mov_b64 s[6:7], 0
	s_mov_b64 s[10:11], 0
.LBB33_6:
	v_cmp_gt_u32_e32 vcc, v0, v4
	v_cmp_le_u32_e64 s[0:1], v0, v4
	s_andn2_b64 s[6:7], s[6:7], exec
	s_and_b64 s[16:17], vcc, exec
	s_andn2_b64 s[10:11], s[10:11], exec
	s_and_b64 s[0:1], s[0:1], exec
	s_or_b64 s[6:7], s[6:7], s[16:17]
	s_or_b64 s[10:11], s[10:11], s[0:1]
.LBB33_7:
	s_branch .LBB33_10
.LBB33_8:
	s_cmpk_eq_i32 s2, 0x79
	s_mov_b64 s[10:11], -1
	s_cbranch_scc0 .LBB33_10
; %bb.9:
	v_cmp_gt_u32_e32 vcc, v4, v0
	v_cmp_le_u32_e64 s[0:1], v4, v0
	s_andn2_b64 s[6:7], s[6:7], exec
	s_and_b64 s[10:11], vcc, exec
	s_or_b64 s[6:7], s[6:7], s[10:11]
	s_orn2_b64 s[10:11], s[0:1], exec
.LBB33_10:
	s_and_saveexec_b64 s[0:1], s[10:11]
; %bb.11:
	s_cmpk_eq_i32 s3, 0x83
	s_cselect_b64 s[2:3], -1, 0
	v_cmp_eq_u32_e32 vcc, v0, v4
	s_and_b64 s[2:3], s[2:3], vcc
	s_andn2_b64 s[6:7], s[6:7], exec
	s_and_b64 s[2:3], s[2:3], exec
	s_or_b64 s[6:7], s[6:7], s[2:3]
; %bb.12:
	s_or_b64 exec, exec, s[0:1]
	s_and_b64 exec, exec, s[6:7]
	s_cbranch_execz .LBB33_16
; %bb.13:
	s_load_dwordx8 s[16:23], s[4:5], 0x10
	s_ashr_i32 s4, s13, 31
	s_ashr_i32 s5, s14, 31
	s_mul_i32 s4, s4, s8
	s_waitcnt lgkmcnt(0)
	s_mul_i32 s2, s21, s8
	s_mul_hi_u32 s3, s20, s8
	s_add_i32 s3, s3, s2
	s_mul_i32 s2, s20, s8
	s_ashr_i32 s1, s18, 31
	s_lshl_b64 s[2:3], s[2:3], 4
	s_mov_b32 s0, s18
	s_add_u32 s2, s16, s2
	s_addc_u32 s3, s17, s3
	s_lshl_b64 s[0:1], s[0:1], 4
	s_add_u32 s6, s2, s0
	s_mul_hi_u32 s0, s13, s8
	s_mul_i32 s2, s13, s8
	s_addc_u32 s7, s3, s1
	s_add_i32 s0, s0, s4
	s_mul_i32 s1, s2, s5
	v_mad_u64_u32 v[2:3], s[4:5], v4, s19, v[0:1]
	s_mul_hi_u32 s3, s2, s14
	s_add_i32 s1, s3, s1
	s_mul_i32 s0, s0, s14
	s_add_i32 s1, s1, s0
	s_mul_i32 s0, s2, s14
	v_mov_b32_e32 v3, 0
	s_lshl_b64 s[0:1], s[0:1], 3
	v_lshlrev_b64 v[1:2], 4, v[2:3]
	s_add_u32 s2, s22, s0
	s_addc_u32 s3, s23, s1
	v_mov_b32_e32 v5, s7
	v_add_co_u32_e32 v1, vcc, s6, v1
	s_cmp_lg_u32 s12, 0
	v_addc_co_u32_e32 v2, vcc, v5, v2, vcc
	s_cbranch_scc0 .LBB33_17
; %bb.14:
	v_mad_u64_u32 v[5:6], s[0:1], v4, s9, v[0:1]
	v_mov_b32_e32 v6, v3
	v_mov_b32_e32 v7, s3
	v_lshlrev_b64 v[5:6], 3, v[5:6]
	v_add_co_u32_e32 v5, vcc, s2, v5
	v_addc_co_u32_e32 v6, vcc, v7, v6, vcc
	global_load_dwordx2 v[5:6], v[5:6], off
	s_waitcnt vmcnt(0)
	global_store_dwordx2 v[1:2], v[5:6], off offset:8
	s_cbranch_execnz .LBB33_16
.LBB33_15:
	global_load_dwordx2 v[1:2], v[1:2], off offset:8
	s_waitcnt vmcnt(0)
	v_mad_u64_u32 v[3:4], s[0:1], v4, s9, v[0:1]
	v_mov_b32_e32 v4, 0
	v_mov_b32_e32 v0, s3
	v_lshlrev_b64 v[3:4], 3, v[3:4]
	v_add_co_u32_e32 v3, vcc, s2, v3
	v_addc_co_u32_e32 v4, vcc, v0, v4, vcc
	global_store_dwordx2 v[3:4], v[1:2], off
.LBB33_16:
	s_endpgm
.LBB33_17:
	s_branch .LBB33_15
	.section	.rodata,"a",@progbits
	.p2align	6, 0x0
	.amdhsa_kernel _ZN9rocsolver6v33100L8copy_matI19rocblas_complex_numIdEdLb0EPS3_TnNSt9enable_ifIX18rocblas_is_complexIT_EEiE4typeELi0EEEvNS0_17copymat_directionEiiT2_iilPT0_13rocblas_fill_17rocblas_diagonal_
		.amdhsa_group_segment_fixed_size 0
		.amdhsa_private_segment_fixed_size 0
		.amdhsa_kernarg_size 312
		.amdhsa_user_sgpr_count 6
		.amdhsa_user_sgpr_private_segment_buffer 1
		.amdhsa_user_sgpr_dispatch_ptr 0
		.amdhsa_user_sgpr_queue_ptr 0
		.amdhsa_user_sgpr_kernarg_segment_ptr 1
		.amdhsa_user_sgpr_dispatch_id 0
		.amdhsa_user_sgpr_flat_scratch_init 0
		.amdhsa_user_sgpr_private_segment_size 0
		.amdhsa_uses_dynamic_stack 0
		.amdhsa_system_sgpr_private_segment_wavefront_offset 0
		.amdhsa_system_sgpr_workgroup_id_x 1
		.amdhsa_system_sgpr_workgroup_id_y 1
		.amdhsa_system_sgpr_workgroup_id_z 1
		.amdhsa_system_sgpr_workgroup_info 0
		.amdhsa_system_vgpr_workitem_id 1
		.amdhsa_next_free_vgpr 8
		.amdhsa_next_free_sgpr 24
		.amdhsa_reserve_vcc 1
		.amdhsa_reserve_flat_scratch 0
		.amdhsa_float_round_mode_32 0
		.amdhsa_float_round_mode_16_64 0
		.amdhsa_float_denorm_mode_32 3
		.amdhsa_float_denorm_mode_16_64 3
		.amdhsa_dx10_clamp 1
		.amdhsa_ieee_mode 1
		.amdhsa_fp16_overflow 0
		.amdhsa_exception_fp_ieee_invalid_op 0
		.amdhsa_exception_fp_denorm_src 0
		.amdhsa_exception_fp_ieee_div_zero 0
		.amdhsa_exception_fp_ieee_overflow 0
		.amdhsa_exception_fp_ieee_underflow 0
		.amdhsa_exception_fp_ieee_inexact 0
		.amdhsa_exception_int_div_zero 0
	.end_amdhsa_kernel
	.section	.text._ZN9rocsolver6v33100L8copy_matI19rocblas_complex_numIdEdLb0EPS3_TnNSt9enable_ifIX18rocblas_is_complexIT_EEiE4typeELi0EEEvNS0_17copymat_directionEiiT2_iilPT0_13rocblas_fill_17rocblas_diagonal_,"axG",@progbits,_ZN9rocsolver6v33100L8copy_matI19rocblas_complex_numIdEdLb0EPS3_TnNSt9enable_ifIX18rocblas_is_complexIT_EEiE4typeELi0EEEvNS0_17copymat_directionEiiT2_iilPT0_13rocblas_fill_17rocblas_diagonal_,comdat
.Lfunc_end33:
	.size	_ZN9rocsolver6v33100L8copy_matI19rocblas_complex_numIdEdLb0EPS3_TnNSt9enable_ifIX18rocblas_is_complexIT_EEiE4typeELi0EEEvNS0_17copymat_directionEiiT2_iilPT0_13rocblas_fill_17rocblas_diagonal_, .Lfunc_end33-_ZN9rocsolver6v33100L8copy_matI19rocblas_complex_numIdEdLb0EPS3_TnNSt9enable_ifIX18rocblas_is_complexIT_EEiE4typeELi0EEEvNS0_17copymat_directionEiiT2_iilPT0_13rocblas_fill_17rocblas_diagonal_
                                        ; -- End function
	.set _ZN9rocsolver6v33100L8copy_matI19rocblas_complex_numIdEdLb0EPS3_TnNSt9enable_ifIX18rocblas_is_complexIT_EEiE4typeELi0EEEvNS0_17copymat_directionEiiT2_iilPT0_13rocblas_fill_17rocblas_diagonal_.num_vgpr, 8
	.set _ZN9rocsolver6v33100L8copy_matI19rocblas_complex_numIdEdLb0EPS3_TnNSt9enable_ifIX18rocblas_is_complexIT_EEiE4typeELi0EEEvNS0_17copymat_directionEiiT2_iilPT0_13rocblas_fill_17rocblas_diagonal_.num_agpr, 0
	.set _ZN9rocsolver6v33100L8copy_matI19rocblas_complex_numIdEdLb0EPS3_TnNSt9enable_ifIX18rocblas_is_complexIT_EEiE4typeELi0EEEvNS0_17copymat_directionEiiT2_iilPT0_13rocblas_fill_17rocblas_diagonal_.numbered_sgpr, 24
	.set _ZN9rocsolver6v33100L8copy_matI19rocblas_complex_numIdEdLb0EPS3_TnNSt9enable_ifIX18rocblas_is_complexIT_EEiE4typeELi0EEEvNS0_17copymat_directionEiiT2_iilPT0_13rocblas_fill_17rocblas_diagonal_.num_named_barrier, 0
	.set _ZN9rocsolver6v33100L8copy_matI19rocblas_complex_numIdEdLb0EPS3_TnNSt9enable_ifIX18rocblas_is_complexIT_EEiE4typeELi0EEEvNS0_17copymat_directionEiiT2_iilPT0_13rocblas_fill_17rocblas_diagonal_.private_seg_size, 0
	.set _ZN9rocsolver6v33100L8copy_matI19rocblas_complex_numIdEdLb0EPS3_TnNSt9enable_ifIX18rocblas_is_complexIT_EEiE4typeELi0EEEvNS0_17copymat_directionEiiT2_iilPT0_13rocblas_fill_17rocblas_diagonal_.uses_vcc, 1
	.set _ZN9rocsolver6v33100L8copy_matI19rocblas_complex_numIdEdLb0EPS3_TnNSt9enable_ifIX18rocblas_is_complexIT_EEiE4typeELi0EEEvNS0_17copymat_directionEiiT2_iilPT0_13rocblas_fill_17rocblas_diagonal_.uses_flat_scratch, 0
	.set _ZN9rocsolver6v33100L8copy_matI19rocblas_complex_numIdEdLb0EPS3_TnNSt9enable_ifIX18rocblas_is_complexIT_EEiE4typeELi0EEEvNS0_17copymat_directionEiiT2_iilPT0_13rocblas_fill_17rocblas_diagonal_.has_dyn_sized_stack, 0
	.set _ZN9rocsolver6v33100L8copy_matI19rocblas_complex_numIdEdLb0EPS3_TnNSt9enable_ifIX18rocblas_is_complexIT_EEiE4typeELi0EEEvNS0_17copymat_directionEiiT2_iilPT0_13rocblas_fill_17rocblas_diagonal_.has_recursion, 0
	.set _ZN9rocsolver6v33100L8copy_matI19rocblas_complex_numIdEdLb0EPS3_TnNSt9enable_ifIX18rocblas_is_complexIT_EEiE4typeELi0EEEvNS0_17copymat_directionEiiT2_iilPT0_13rocblas_fill_17rocblas_diagonal_.has_indirect_call, 0
	.section	.AMDGPU.csdata,"",@progbits
; Kernel info:
; codeLenInByte = 548
; TotalNumSgprs: 28
; NumVgprs: 8
; ScratchSize: 0
; MemoryBound: 0
; FloatMode: 240
; IeeeMode: 1
; LDSByteSize: 0 bytes/workgroup (compile time only)
; SGPRBlocks: 3
; VGPRBlocks: 1
; NumSGPRsForWavesPerEU: 28
; NumVGPRsForWavesPerEU: 8
; Occupancy: 10
; WaveLimiterHint : 0
; COMPUTE_PGM_RSRC2:SCRATCH_EN: 0
; COMPUTE_PGM_RSRC2:USER_SGPR: 6
; COMPUTE_PGM_RSRC2:TRAP_HANDLER: 0
; COMPUTE_PGM_RSRC2:TGID_X_EN: 1
; COMPUTE_PGM_RSRC2:TGID_Y_EN: 1
; COMPUTE_PGM_RSRC2:TGID_Z_EN: 1
; COMPUTE_PGM_RSRC2:TIDIG_COMP_CNT: 1
	.section	.text._ZN9rocsolver6v33100L11stedcj_sortI19rocblas_complex_numIdEdPS3_EEviPT0_lT1_iiliPiS8_,"axG",@progbits,_ZN9rocsolver6v33100L11stedcj_sortI19rocblas_complex_numIdEdPS3_EEviPT0_lT1_iiliPiS8_,comdat
	.globl	_ZN9rocsolver6v33100L11stedcj_sortI19rocblas_complex_numIdEdPS3_EEviPT0_lT1_iiliPiS8_ ; -- Begin function _ZN9rocsolver6v33100L11stedcj_sortI19rocblas_complex_numIdEdPS3_EEviPT0_lT1_iiliPiS8_
	.p2align	8
	.type	_ZN9rocsolver6v33100L11stedcj_sortI19rocblas_complex_numIdEdPS3_EEviPT0_lT1_iiliPiS8_,@function
_ZN9rocsolver6v33100L11stedcj_sortI19rocblas_complex_numIdEdPS3_EEviPT0_lT1_iiliPiS8_: ; @_ZN9rocsolver6v33100L11stedcj_sortI19rocblas_complex_numIdEdPS3_EEviPT0_lT1_iiliPiS8_
; %bb.0:
	s_load_dword s33, s[6:7], 0x30
	s_add_u32 flat_scratch_lo, s8, s12
	s_addc_u32 flat_scratch_hi, s9, 0
	s_add_u32 s0, s0, s12
	s_addc_u32 s1, s1, 0
	s_waitcnt lgkmcnt(0)
	s_cmp_ge_i32 s11, s33
	s_mov_b32 s32, 0
	s_cbranch_scc1 .LBB34_70
; %bb.1:
	s_load_dwordx2 s[8:9], s[4:5], 0x4
	s_load_dword s62, s[6:7], 0x0
	s_load_dwordx8 s[16:23], s[6:7], 0x8
	s_load_dwordx2 s[30:31], s[6:7], 0x28
	s_load_dwordx4 s[24:27], s[6:7], 0x38
	s_waitcnt lgkmcnt(0)
	s_lshr_b32 s4, s8, 16
	s_mul_i32 s4, s4, s9
	v_mul_lo_u32 v3, s4, v0
	s_add_u32 s34, s6, 0x48
	s_mul_hi_i32 s5, s62, s11
	s_mul_i32 s4, s62, s11
	s_addc_u32 s35, s7, 0
	s_lshl_b64 s[4:5], s[4:5], 2
	s_add_u32 s64, s24, s4
	s_addc_u32 s65, s25, s5
	s_cmp_lg_u64 s[20:21], 0
	v_mad_u32_u24 v3, v1, s9, v3
	s_cselect_b64 s[8:9], -1, 0
	s_ashr_i32 s5, s22, 31
	s_mov_b32 s4, s22
	s_lshl_b64 s[4:5], s[4:5], 4
	s_add_u32 s66, s20, s4
	s_addc_u32 s67, s21, s5
	s_cmp_lg_u64 s[26:27], 0
	s_mov_b32 s28, s11
	s_cselect_b64 s[10:11], -1, 0
	s_cmp_eq_u64 s[16:17], 0
	s_load_dword s63, s[6:7], 0x50
	s_cselect_b64 s[20:21], -1, 0
	s_cmp_lg_u64 s[24:25], 0
	v_add_lshl_u32 v9, v3, v2, 4
	v_or3_b32 v3, v1, v2, v0
	s_cselect_b64 s[24:25], -1, 0
	s_min_i32 s12, s62, s23
	v_cmp_eq_u32_e64 s[4:5], 0, v3
	s_cmp_gt_i32 s12, 0
	v_cndmask_b32_e64 v3, 0, 1, s[8:9]
	s_cselect_b64 s[12:13], -1, 0
	v_cmp_ne_u32_e64 s[8:9], 1, v3
	v_cndmask_b32_e64 v3, 0, 1, s[10:11]
	s_mov_b64 s[36:37], 0
	s_mov_b32 s39, 0
	s_mov_b32 s68, s23
	v_cndmask_b32_e64 v10, 0, 1, s[24:25]
	s_and_b64 s[40:41], s[12:13], s[24:25]
	v_mov_b32_e32 v4, 0
	v_cmp_ne_u32_e64 s[10:11], 1, v3
                                        ; implicit-def: $sgpr42_sgpr43
                                        ; implicit-def: $sgpr22_sgpr23
                                        ; implicit-def: $sgpr44_sgpr45
                                        ; implicit-def: $sgpr46_sgpr47
	s_branch .LBB34_4
.LBB34_2:                               ;   in Loop: Header=BB34_4 Depth=1
	s_or_b64 exec, exec, s[14:15]
	s_andn2_b64 s[12:13], s[46:47], exec
	s_and_b64 s[14:15], s[48:49], exec
	s_or_b64 s[46:47], s[12:13], s[14:15]
	s_andn2_b64 s[44:45], s[44:45], exec
	s_orn2_b64 s[14:15], s[52:53], exec
.LBB34_3:                               ;   in Loop: Header=BB34_4 Depth=1
	s_or_b64 exec, exec, s[50:51]
	s_and_b64 s[12:13], exec, s[14:15]
	s_or_b64 s[36:37], s[12:13], s[36:37]
	s_andn2_b64 s[12:13], s[22:23], exec
	s_and_b64 s[14:15], s[46:47], exec
	s_or_b64 s[22:23], s[12:13], s[14:15]
	s_andn2_b64 s[12:13], s[42:43], exec
	s_and_b64 s[14:15], s[44:45], exec
	s_or_b64 s[42:43], s[12:13], s[14:15]
	s_andn2_b64 exec, exec, s[36:37]
	s_cbranch_execz .LBB34_66
.LBB34_4:                               ; =>This Loop Header: Depth=1
                                        ;     Child Loop BB34_11 Depth 2
                                        ;     Child Loop BB34_15 Depth 2
                                        ;       Child Loop BB34_18 Depth 3
                                        ;         Child Loop BB34_22 Depth 4
                                        ;     Child Loop BB34_33 Depth 2
                                        ;     Child Loop BB34_47 Depth 2
                                        ;       Child Loop BB34_49 Depth 3
                                        ;         Child Loop BB34_54 Depth 4
                                        ;     Child Loop BB34_58 Depth 2
	s_ashr_i32 s29, s28, 31
	s_and_b64 vcc, exec, s[8:9]
	s_mov_b64 s[48:49], 0
	s_cbranch_vccnz .LBB34_6
; %bb.5:                                ;   in Loop: Header=BB34_4 Depth=1
	s_mul_i32 s12, s30, s29
	s_mul_hi_u32 s13, s30, s28
	s_add_i32 s12, s13, s12
	s_mul_i32 s13, s31, s28
	s_add_i32 s13, s12, s13
	s_mul_i32 s12, s30, s28
	s_lshl_b64 s[12:13], s[12:13], 4
	s_add_u32 s48, s66, s12
	s_addc_u32 s49, s67, s13
.LBB34_6:                               ;   in Loop: Header=BB34_4 Depth=1
	s_and_b64 vcc, exec, s[10:11]
	s_mov_b32 s69, s62
	s_cbranch_vccnz .LBB34_8
; %bb.7:                                ;   in Loop: Header=BB34_4 Depth=1
	s_lshl_b64 s[12:13], s[28:29], 2
	s_add_u32 s12, s26, s12
	s_addc_u32 s13, s27, s13
	global_load_dword v3, v4, s[12:13]
	s_waitcnt vmcnt(0)
	v_readfirstlane_b32 s69, v3
.LBB34_8:                               ;   in Loop: Header=BB34_4 Depth=1
	s_cmp_lt_i32 s69, 1
	s_cselect_b64 s[12:13], -1, 0
	s_or_b64 s[12:13], s[20:21], s[12:13]
	s_mov_b64 s[14:15], -1
	s_and_b64 vcc, exec, s[12:13]
	s_mov_b64 s[12:13], -1
	s_waitcnt lgkmcnt(0)
	s_barrier
	s_cbranch_vccnz .LBB34_42
; %bb.9:                                ;   in Loop: Header=BB34_4 Depth=1
	s_load_dwordx2 s[12:13], s[34:35], 0xc
	s_waitcnt lgkmcnt(0)
	s_barrier
	s_lshr_b32 s38, s12, 16
	s_and_b32 s12, s12, 0xffff
	s_mul_i32 s70, s38, s12
	v_mul_lo_u32 v3, s70, v2
	v_mul_u32_u24_e32 v5, s12, v1
	s_and_b32 s13, s13, 0xffff
	s_mul_i32 s70, s70, s13
	v_add3_u32 v11, v5, v0, v3
	v_cmp_gt_u32_e32 vcc, s69, v11
	s_and_b64 s[50:51], s[24:25], vcc
	s_and_saveexec_b64 s[12:13], s[50:51]
	s_cbranch_execz .LBB34_12
; %bb.10:                               ;   in Loop: Header=BB34_4 Depth=1
	s_mov_b64 s[50:51], 0
	v_mov_b32_e32 v3, v11
.LBB34_11:                              ;   Parent Loop BB34_4 Depth=1
                                        ; =>  This Inner Loop Header: Depth=2
	v_lshlrev_b64 v[5:6], 2, v[3:4]
	v_mov_b32_e32 v7, s65
	v_add_co_u32_e32 v5, vcc, s64, v5
	v_addc_co_u32_e32 v6, vcc, v7, v6, vcc
	global_store_dword v[5:6], v3, off
	v_add_u32_e32 v3, s70, v3
	v_cmp_le_u32_e32 vcc, s69, v3
	s_or_b64 s[50:51], vcc, s[50:51]
	s_andn2_b64 exec, exec, s[50:51]
	s_cbranch_execnz .LBB34_11
.LBB34_12:                              ;   in Loop: Header=BB34_4 Depth=1
	s_or_b64 exec, exec, s[12:13]
	s_mul_i32 s12, s18, s29
	s_mul_hi_u32 s13, s18, s28
	s_add_i32 s12, s13, s12
	s_mul_i32 s13, s19, s28
	s_add_i32 s13, s12, s13
	s_mul_i32 s12, s18, s28
	s_lshl_b64 s[12:13], s[12:13], 3
	s_add_u32 s29, s16, s12
	s_addc_u32 s60, s17, s13
	s_waitcnt vmcnt(0)
	s_barrier
	s_and_saveexec_b64 s[50:51], s[4:5]
	s_cbranch_execz .LBB34_29
; %bb.13:                               ;   in Loop: Header=BB34_4 Depth=1
	s_mov_b32 s52, 0
	s_branch .LBB34_15
.LBB34_14:                              ;   in Loop: Header=BB34_15 Depth=2
	s_add_i32 s52, s52, 1
	s_cmp_eq_u32 s52, 8
	s_cbranch_scc1 .LBB34_29
.LBB34_15:                              ;   Parent Loop BB34_4 Depth=1
                                        ; =>  This Loop Header: Depth=2
                                        ;       Child Loop BB34_18 Depth 3
                                        ;         Child Loop BB34_22 Depth 4
	s_mov_b32 s53, s39
	s_lshl_b64 s[12:13], s[52:53], 2
	s_getpc_b64 s[54:55]
	s_add_u32 s54, s54, __const._ZN9rocsolver6v33100L20shell_sort_ascendingIdiEEvT0_PT_PS2_.gaps@rel32@lo+4
	s_addc_u32 s55, s55, __const._ZN9rocsolver6v33100L20shell_sort_ascendingIdiEEvT0_PT_PS2_.gaps@rel32@hi+12
	s_add_u32 s12, s54, s12
	s_addc_u32 s13, s55, s13
	s_load_dword s53, s[12:13], 0x0
	s_waitcnt lgkmcnt(0)
	s_cmp_ge_i32 s53, s69
	s_cbranch_scc1 .LBB34_14
; %bb.16:                               ;   in Loop: Header=BB34_15 Depth=2
	s_mov_b32 s61, 0
	s_mov_b32 s54, s53
	s_branch .LBB34_18
.LBB34_17:                              ;   in Loop: Header=BB34_18 Depth=3
	s_add_i32 s54, s54, 1
	s_add_i32 s61, s61, 1
	s_cmp_ge_i32 s54, s69
	s_cbranch_scc1 .LBB34_14
.LBB34_18:                              ;   Parent Loop BB34_4 Depth=1
                                        ;     Parent Loop BB34_15 Depth=2
                                        ; =>    This Loop Header: Depth=3
                                        ;         Child Loop BB34_22 Depth 4
	s_ashr_i32 s55, s54, 31
	s_lshl_b64 s[12:13], s[54:55], 3
	s_add_u32 s12, s29, s12
	s_addc_u32 s13, s60, s13
	global_load_dwordx2 v[5:6], v4, s[12:13]
	v_cmp_ne_u32_e64 s[12:13], 1, v10
	s_andn2_b64 vcc, exec, s[24:25]
	s_cbranch_vccnz .LBB34_20
; %bb.19:                               ;   in Loop: Header=BB34_18 Depth=3
	s_lshl_b64 s[56:57], s[54:55], 2
	s_add_u32 s56, s64, s56
	s_addc_u32 s57, s65, s57
	global_load_dword v3, v4, s[56:57]
	s_cmp_lt_i32 s54, s53
	s_mov_b64 s[56:57], s[54:55]
	s_mov_b32 s38, s61
	s_cbranch_scc0 .LBB34_22
	s_branch .LBB34_27
.LBB34_20:                              ;   in Loop: Header=BB34_18 Depth=3
	v_mov_b32_e32 v3, 0
	s_cmp_lt_i32 s54, s53
	s_mov_b64 s[56:57], s[54:55]
	s_mov_b32 s38, s61
	s_cbranch_scc0 .LBB34_22
	s_branch .LBB34_27
.LBB34_21:                              ;   in Loop: Header=BB34_22 Depth=4
                                        ; implicit-def: $sgpr55
	s_and_b64 vcc, exec, s[58:59]
	s_mov_b32 s38, s55
	s_cbranch_vccnz .LBB34_26
.LBB34_22:                              ;   Parent Loop BB34_4 Depth=1
                                        ;     Parent Loop BB34_15 Depth=2
                                        ;       Parent Loop BB34_18 Depth=3
                                        ; =>      This Inner Loop Header: Depth=4
	s_add_i32 s56, s53, s38
	s_lshl_b64 s[58:59], s[38:39], 3
	s_add_u32 s58, s29, s58
	s_addc_u32 s59, s60, s59
	global_load_dwordx2 v[7:8], v4, s[58:59]
	s_mov_b64 s[58:59], -1
	s_waitcnt vmcnt(0)
	v_cmp_ngt_f64_e32 vcc, v[7:8], v[5:6]
	s_cbranch_vccnz .LBB34_21
; %bb.23:                               ;   in Loop: Header=BB34_22 Depth=4
	s_ashr_i32 s57, s56, 31
	s_lshl_b64 s[58:59], s[56:57], 3
	s_add_u32 s58, s29, s58
	s_addc_u32 s59, s60, s59
	s_and_b64 vcc, exec, s[12:13]
	global_store_dwordx2 v4, v[7:8], s[58:59]
	s_cbranch_vccnz .LBB34_25
; %bb.24:                               ;   in Loop: Header=BB34_22 Depth=4
	s_lshl_b64 s[56:57], s[56:57], 2
	s_add_u32 s56, s64, s56
	s_addc_u32 s57, s65, s57
	s_lshl_b64 s[58:59], s[38:39], 2
	s_add_u32 s58, s64, s58
	s_addc_u32 s59, s65, s59
	global_load_dword v7, v4, s[58:59]
	s_waitcnt vmcnt(0)
	global_store_dword v4, v7, s[56:57]
.LBB34_25:                              ;   in Loop: Header=BB34_22 Depth=4
	s_sub_i32 s55, s38, s53
	s_cmp_lt_i32 s38, s53
	s_cselect_b64 s[58:59], -1, 0
	s_mov_b32 s56, s38
	s_and_b64 vcc, exec, s[58:59]
	s_mov_b32 s38, s55
	s_cbranch_vccz .LBB34_22
.LBB34_26:                              ;   in Loop: Header=BB34_18 Depth=3
	s_ashr_i32 s57, s56, 31
.LBB34_27:                              ;   in Loop: Header=BB34_18 Depth=3
	s_lshl_b64 s[58:59], s[56:57], 3
	s_add_u32 s58, s29, s58
	s_addc_u32 s59, s60, s59
	s_and_b64 vcc, exec, s[12:13]
	s_waitcnt vmcnt(0)
	global_store_dwordx2 v4, v[5:6], s[58:59]
	s_cbranch_vccnz .LBB34_17
; %bb.28:                               ;   in Loop: Header=BB34_18 Depth=3
	s_lshl_b64 s[12:13], s[56:57], 2
	s_add_u32 s12, s64, s12
	s_addc_u32 s13, s65, s13
	global_store_dword v4, v3, s[12:13]
	s_branch .LBB34_17
.LBB34_29:                              ;   in Loop: Header=BB34_4 Depth=1
	s_or_b64 exec, exec, s[50:51]
	s_cmp_lt_u32 s69, 2
	s_cselect_b64 s[52:53], -1, 0
	s_and_b64 vcc, exec, s[52:53]
	s_waitcnt vmcnt(0)
	s_barrier
	s_cbranch_vccnz .LBB34_39
; %bb.30:                               ;   in Loop: Header=BB34_4 Depth=1
	s_add_i32 s38, s69, -1
	v_cmp_gt_u32_e32 vcc, s38, v11
	s_mov_b64 s[52:53], -1
	s_and_saveexec_b64 s[50:51], vcc
	s_cbranch_execz .LBB34_38
; %bb.31:                               ;   in Loop: Header=BB34_4 Depth=1
	s_mov_b64 s[52:53], 0
	v_mov_b32_e32 v12, s60
	v_mov_b32_e32 v3, v11
                                        ; implicit-def: $sgpr54_sgpr55
	s_branch .LBB34_33
.LBB34_32:                              ;   in Loop: Header=BB34_33 Depth=2
	s_or_b64 exec, exec, s[60:61]
	s_xor_b64 s[56:57], s[58:59], -1
	s_and_b64 s[12:13], exec, s[12:13]
	s_or_b64 s[52:53], s[12:13], s[52:53]
	s_andn2_b64 s[12:13], s[54:55], exec
	s_and_b64 s[54:55], s[56:57], exec
	s_or_b64 s[54:55], s[12:13], s[54:55]
	s_andn2_b64 exec, exec, s[52:53]
	s_cbranch_execz .LBB34_37
.LBB34_33:                              ;   Parent Loop BB34_4 Depth=1
                                        ; =>  This Inner Loop Header: Depth=2
	v_lshlrev_b64 v[5:6], 3, v[3:4]
	v_add_co_u32_e32 v5, vcc, s29, v5
	v_addc_co_u32_e32 v6, vcc, v12, v6, vcc
	global_load_dwordx2 v[7:8], v[5:6], off
	s_waitcnt vmcnt(0)
	v_cmp_u_f64_e64 s[56:57], v[7:8], v[7:8]
	v_cmp_o_f64_e32 vcc, v[7:8], v[7:8]
	s_and_saveexec_b64 s[58:59], vcc
	s_cbranch_execz .LBB34_35
; %bb.34:                               ;   in Loop: Header=BB34_33 Depth=2
	global_load_dwordx2 v[5:6], v[5:6], off offset:8
	s_andn2_b64 s[56:57], s[56:57], exec
	s_waitcnt vmcnt(0)
	v_cmp_u_f64_e32 vcc, v[5:6], v[5:6]
	v_cmp_le_f64_e64 s[12:13], v[7:8], v[5:6]
	s_or_b64 s[12:13], vcc, s[12:13]
	s_and_b64 s[12:13], s[12:13], exec
	s_or_b64 s[56:57], s[56:57], s[12:13]
.LBB34_35:                              ;   in Loop: Header=BB34_33 Depth=2
	s_or_b64 exec, exec, s[58:59]
	s_mov_b64 s[12:13], -1
	s_mov_b64 s[58:59], -1
	s_and_saveexec_b64 s[60:61], s[56:57]
	s_cbranch_execz .LBB34_32
; %bb.36:                               ;   in Loop: Header=BB34_33 Depth=2
	v_add_u32_e32 v3, s70, v3
	v_cmp_le_u32_e32 vcc, s38, v3
	s_xor_b64 s[58:59], exec, -1
	s_orn2_b64 s[12:13], vcc, exec
	s_branch .LBB34_32
.LBB34_37:                              ;   in Loop: Header=BB34_4 Depth=1
	s_or_b64 exec, exec, s[52:53]
	s_orn2_b64 s[52:53], s[54:55], exec
.LBB34_38:                              ;   in Loop: Header=BB34_4 Depth=1
	s_or_b64 exec, exec, s[50:51]
.LBB34_39:                              ;   in Loop: Header=BB34_4 Depth=1
	s_mov_b64 s[12:13], 0
	s_and_saveexec_b64 s[50:51], s[52:53]
	s_cbranch_execz .LBB34_41
; %bb.40:                               ;   in Loop: Header=BB34_4 Depth=1
	s_mov_b64 s[12:13], exec
	s_barrier
.LBB34_41:                              ;   in Loop: Header=BB34_4 Depth=1
	s_or_b64 exec, exec, s[50:51]
.LBB34_42:                              ;   in Loop: Header=BB34_4 Depth=1
	s_andn2_b64 s[46:47], s[46:47], exec
	s_or_b64 s[44:45], s[44:45], exec
	s_and_saveexec_b64 s[50:51], s[12:13]
	s_cbranch_execz .LBB34_3
; %bb.43:                               ;   in Loop: Header=BB34_4 Depth=1
	s_cmp_lg_u64 s[48:49], 0
	s_cselect_b64 s[12:13], -1, 0
	s_and_b64 s[12:13], s[12:13], s[40:41]
	s_mov_b64 s[52:53], -1
	s_and_b64 vcc, exec, s[12:13]
	s_mov_b64 s[12:13], -1
	s_barrier
	s_cbranch_vccz .LBB34_64
; %bb.44:                               ;   in Loop: Header=BB34_4 Depth=1
	s_load_dwordx2 s[12:13], s[34:35], 0xc
	s_waitcnt lgkmcnt(0)
	s_lshr_b32 s14, s12, 16
	s_and_b32 s12, s12, 0xffff
	v_mul_u32_u24_e32 v3, s12, v1
	s_mul_i32 s12, s14, s12
	v_mul_lo_u32 v5, s12, v2
	s_and_b32 s13, s13, 0xffff
	s_cmp_lt_i32 s69, 0
	s_cselect_b32 s29, s62, s69
	s_cmp_eq_u32 s29, 0
	v_add3_u32 v5, v3, v0, v5
	s_mul_i32 s69, s12, s13
	s_cbranch_scc1 .LBB34_55
; %bb.45:                               ;   in Loop: Header=BB34_4 Depth=1
	s_mov_b32 s38, 0
	v_cmp_eq_u32_e64 s[12:13], 0, v5
	v_cmp_gt_u32_e64 s[14:15], s62, v5
	s_branch .LBB34_47
.LBB34_46:                              ;   in Loop: Header=BB34_47 Depth=2
	s_add_i32 s38, s38, 1
	s_cmp_eq_u32 s38, s29
	s_cbranch_scc1 .LBB34_55
.LBB34_47:                              ;   Parent Loop BB34_4 Depth=1
                                        ; =>  This Loop Header: Depth=2
                                        ;       Child Loop BB34_49 Depth 3
                                        ;         Child Loop BB34_54 Depth 4
	s_lshl_b64 s[54:55], s[38:39], 2
	s_add_u32 s54, s64, s54
	s_addc_u32 s55, s65, s55
	s_barrier
	s_branch .LBB34_49
.LBB34_48:                              ;   in Loop: Header=BB34_49 Depth=3
	s_or_b64 exec, exec, s[56:57]
	s_waitcnt vmcnt(0) lgkmcnt(0)
	s_barrier
.LBB34_49:                              ;   Parent Loop BB34_4 Depth=1
                                        ;     Parent Loop BB34_47 Depth=2
                                        ; =>    This Loop Header: Depth=3
                                        ;         Child Loop BB34_54 Depth 4
	global_load_dword v3, v4, s[54:55]
	s_waitcnt vmcnt(0)
	v_cmp_eq_u32_e32 vcc, s38, v3
	v_readfirstlane_b32 s58, v3
	s_cbranch_vccnz .LBB34_46
; %bb.50:                               ;   in Loop: Header=BB34_49 Depth=3
	s_ashr_i32 s59, s58, 31
	s_lshl_b64 s[56:57], s[58:59], 2
	s_add_u32 s56, s64, s56
	s_addc_u32 s57, s65, s57
	global_load_dword v3, v4, s[56:57]
	s_waitcnt vmcnt(0)
	s_barrier
	v_readfirstlane_b32 s70, v3
	s_and_saveexec_b64 s[60:61], s[12:13]
	s_cbranch_execz .LBB34_52
; %bb.51:                               ;   in Loop: Header=BB34_49 Depth=3
	v_mov_b32_e32 v3, s58
	global_store_dword v4, v3, s[56:57]
	v_mov_b32_e32 v3, s70
	global_store_dword v4, v3, s[54:55]
.LBB34_52:                              ;   in Loop: Header=BB34_49 Depth=3
	s_or_b64 exec, exec, s[60:61]
	s_waitcnt vmcnt(0)
	s_barrier
	s_and_saveexec_b64 s[56:57], s[14:15]
	s_cbranch_execz .LBB34_48
; %bb.53:                               ;   in Loop: Header=BB34_49 Depth=3
	s_mul_i32 s59, s59, s68
	s_mul_hi_u32 s60, s58, s68
	s_add_i32 s59, s60, s59
	s_ashr_i32 s60, s70, 31
	s_mul_i32 s58, s58, s68
	s_mul_hi_u32 s61, s70, s68
	s_mul_i32 s60, s60, s68
	s_add_i32 s71, s61, s60
	s_lshl_b64 s[58:59], s[58:59], 4
	s_mul_i32 s70, s70, s68
	s_add_u32 s60, s48, s58
	s_addc_u32 s72, s49, s59
	s_lshl_b64 s[58:59], s[70:71], 4
	s_add_u32 s61, s48, s58
	s_addc_u32 s70, s49, s59
	s_mov_b64 s[58:59], 0
	v_mov_b32_e32 v6, s72
	v_mov_b32_e32 v7, s70
	;; [unrolled: 1-line block ×3, first 2 shown]
.LBB34_54:                              ;   Parent Loop BB34_4 Depth=1
                                        ;     Parent Loop BB34_47 Depth=2
                                        ;       Parent Loop BB34_49 Depth=3
                                        ; =>      This Inner Loop Header: Depth=4
	v_lshlrev_b64 v[11:12], 4, v[3:4]
	v_add_u32_e32 v3, s69, v3
	v_add_co_u32_e32 v19, vcc, s60, v11
	v_addc_co_u32_e32 v20, vcc, v6, v12, vcc
	v_add_co_u32_e32 v21, vcc, s61, v11
	v_addc_co_u32_e32 v22, vcc, v7, v12, vcc
	global_load_dwordx4 v[11:14], v[19:20], off
	global_load_dwordx4 v[15:18], v[21:22], off
	v_cmp_le_u32_e32 vcc, s62, v3
	s_or_b64 s[58:59], vcc, s[58:59]
	s_waitcnt vmcnt(1)
	ds_write2_b64 v9, v[11:12], v[13:14] offset1:1
	s_waitcnt vmcnt(0)
	global_store_dwordx4 v[19:20], v[15:18], off
	global_store_dwordx4 v[21:22], v[11:14], off
	s_andn2_b64 exec, exec, s[58:59]
	s_cbranch_execnz .LBB34_54
	s_branch .LBB34_48
.LBB34_55:                              ;   in Loop: Header=BB34_4 Depth=1
	v_cmp_gt_u32_e32 vcc, s29, v5
	s_mov_b64 s[14:15], -1
	s_barrier
	s_and_saveexec_b64 s[12:13], vcc
	s_cbranch_execz .LBB34_61
; %bb.56:                               ;   in Loop: Header=BB34_4 Depth=1
	s_mov_b64 s[14:15], 0
	v_mov_b32_e32 v3, v5
                                        ; implicit-def: $sgpr48_sgpr49
                                        ; implicit-def: $sgpr56_sgpr57
                                        ; implicit-def: $sgpr54_sgpr55
	s_branch .LBB34_58
.LBB34_57:                              ;   in Loop: Header=BB34_58 Depth=2
	s_or_b64 exec, exec, s[58:59]
	s_xor_b64 s[58:59], s[54:55], -1
	s_and_b64 s[60:61], exec, s[56:57]
	s_or_b64 s[14:15], s[60:61], s[14:15]
	s_andn2_b64 s[48:49], s[48:49], exec
	s_and_b64 s[58:59], s[58:59], exec
	s_or_b64 s[48:49], s[48:49], s[58:59]
	s_andn2_b64 exec, exec, s[14:15]
	s_cbranch_execz .LBB34_60
.LBB34_58:                              ;   Parent Loop BB34_4 Depth=1
                                        ; =>  This Inner Loop Header: Depth=2
	v_lshlrev_b64 v[5:6], 2, v[3:4]
	v_mov_b32_e32 v7, s65
	v_add_co_u32_e32 v5, vcc, s64, v5
	v_addc_co_u32_e32 v6, vcc, v7, v6, vcc
	global_load_dword v5, v[5:6], off
	s_or_b64 s[54:55], s[54:55], exec
	s_or_b64 s[56:57], s[56:57], exec
	s_waitcnt vmcnt(0)
	v_cmp_eq_u32_e32 vcc, v3, v5
	s_and_saveexec_b64 s[58:59], vcc
	s_cbranch_execz .LBB34_57
; %bb.59:                               ;   in Loop: Header=BB34_58 Depth=2
	v_add_u32_e32 v3, s69, v3
	v_cmp_le_u32_e32 vcc, s29, v3
	s_andn2_b64 s[56:57], s[56:57], exec
	s_and_b64 s[60:61], vcc, exec
	s_andn2_b64 s[54:55], s[54:55], exec
	s_or_b64 s[56:57], s[56:57], s[60:61]
	s_branch .LBB34_57
.LBB34_60:                              ;   in Loop: Header=BB34_4 Depth=1
	s_or_b64 exec, exec, s[14:15]
	s_orn2_b64 s[14:15], s[48:49], exec
.LBB34_61:                              ;   in Loop: Header=BB34_4 Depth=1
	s_or_b64 exec, exec, s[12:13]
	s_mov_b64 s[12:13], 0
	s_and_saveexec_b64 s[48:49], s[14:15]
	s_cbranch_execz .LBB34_63
; %bb.62:                               ;   in Loop: Header=BB34_4 Depth=1
	s_mov_b64 s[12:13], exec
	s_barrier
.LBB34_63:                              ;   in Loop: Header=BB34_4 Depth=1
	s_or_b64 exec, exec, s[48:49]
.LBB34_64:                              ;   in Loop: Header=BB34_4 Depth=1
	s_mov_b64 s[48:49], -1
	s_and_saveexec_b64 s[14:15], s[12:13]
	s_cbranch_execz .LBB34_2
; %bb.65:                               ;   in Loop: Header=BB34_4 Depth=1
	s_add_i32 s28, s28, s63
	s_cmp_ge_i32 s28, s33
	s_cselect_b64 s[12:13], -1, 0
	s_xor_b64 s[48:49], exec, -1
	s_orn2_b64 s[52:53], s[12:13], exec
	s_barrier
	s_branch .LBB34_2
.LBB34_66:
	s_or_b64 exec, exec, s[36:37]
	s_xor_b64 s[4:5], s[42:43], -1
	s_mov_b64 s[26:27], 0
	s_and_saveexec_b64 s[8:9], s[4:5]
	s_xor_b64 s[28:29], exec, s[8:9]
	s_cbranch_execnz .LBB34_71
; %bb.67:
	s_andn2_saveexec_b64 s[28:29], s[28:29]
	s_cbranch_execnz .LBB34_74
.LBB34_68:
	s_or_b64 exec, exec, s[28:29]
	s_and_saveexec_b64 s[4:5], s[26:27]
.LBB34_69:
	; divergent unreachable
.LBB34_70:
	s_endpgm
.LBB34_71:
	s_mov_b64 s[4:5], 0
	s_and_saveexec_b64 s[8:9], s[22:23]
	s_xor_b64 s[26:27], exec, s[8:9]
	s_cbranch_execz .LBB34_73
; %bb.72:
	s_add_u32 s8, s6, 0x48
	s_addc_u32 s9, s7, 0
	s_getpc_b64 s[4:5]
	s_add_u32 s4, s4, .str.8@rel32@lo+4
	s_addc_u32 s5, s5, .str.8@rel32@hi+12
	s_getpc_b64 s[10:11]
	s_add_u32 s10, s10, __PRETTY_FUNCTION__._ZN9rocsolver6v33100L12permute_swapI19rocblas_complex_numIdEiEEvT0_PT_S4_PS4_S4_@rel32@lo+4
	s_addc_u32 s11, s11, __PRETTY_FUNCTION__._ZN9rocsolver6v33100L12permute_swapI19rocblas_complex_numIdEiEEvT0_PT_S4_PS4_S4_@rel32@hi+12
	s_getpc_b64 s[12:13]
	s_add_u32 s12, s12, __assert_fail@rel32@lo+4
	s_addc_u32 s13, s13, __assert_fail@rel32@hi+12
	v_mov_b32_e32 v0, s4
	v_mov_b32_e32 v1, s5
	;; [unrolled: 1-line block ×5, first 2 shown]
	s_mov_b64 s[34:35], s[6:7]
	s_swappc_b64 s[30:31], s[12:13]
	s_mov_b64 s[6:7], s[34:35]
	s_mov_b64 s[4:5], exec
.LBB34_73:
	s_or_b64 exec, exec, s[26:27]
	s_and_b64 s[26:27], s[4:5], exec
	s_andn2_saveexec_b64 s[28:29], s[28:29]
	s_cbranch_execz .LBB34_68
.LBB34_74:
	s_add_u32 s8, s6, 0x48
	s_addc_u32 s9, s7, 0
	s_getpc_b64 s[4:5]
	s_add_u32 s4, s4, .str.5@rel32@lo+4
	s_addc_u32 s5, s5, .str.5@rel32@hi+12
	s_getpc_b64 s[6:7]
	s_add_u32 s6, s6, __PRETTY_FUNCTION__._ZN9rocsolver6v33100L20shell_sort_ascendingIdiEEvT0_PT_PS2_@rel32@lo+4
	s_addc_u32 s7, s7, __PRETTY_FUNCTION__._ZN9rocsolver6v33100L20shell_sort_ascendingIdiEEvT0_PT_PS2_@rel32@hi+12
	s_getpc_b64 s[10:11]
	s_add_u32 s10, s10, __assert_fail@rel32@lo+4
	s_addc_u32 s11, s11, __assert_fail@rel32@hi+12
	v_mov_b32_e32 v0, s4
	v_mov_b32_e32 v1, s5
	v_mov_b32_e32 v2, 0xea
	v_mov_b32_e32 v3, s6
	v_mov_b32_e32 v4, s7
	s_swappc_b64 s[30:31], s[10:11]
	s_or_b64 s[26:27], s[26:27], exec
	s_or_b64 exec, exec, s[28:29]
	s_and_saveexec_b64 s[4:5], s[26:27]
	s_cbranch_execnz .LBB34_69
	s_branch .LBB34_70
	.section	.rodata,"a",@progbits
	.p2align	6, 0x0
	.amdhsa_kernel _ZN9rocsolver6v33100L11stedcj_sortI19rocblas_complex_numIdEdPS3_EEviPT0_lT1_iiliPiS8_
		.amdhsa_group_segment_fixed_size 4096
		.amdhsa_private_segment_fixed_size 64
		.amdhsa_kernarg_size 328
		.amdhsa_user_sgpr_count 10
		.amdhsa_user_sgpr_private_segment_buffer 1
		.amdhsa_user_sgpr_dispatch_ptr 1
		.amdhsa_user_sgpr_queue_ptr 0
		.amdhsa_user_sgpr_kernarg_segment_ptr 1
		.amdhsa_user_sgpr_dispatch_id 0
		.amdhsa_user_sgpr_flat_scratch_init 1
		.amdhsa_user_sgpr_private_segment_size 0
		.amdhsa_uses_dynamic_stack 0
		.amdhsa_system_sgpr_private_segment_wavefront_offset 1
		.amdhsa_system_sgpr_workgroup_id_x 1
		.amdhsa_system_sgpr_workgroup_id_y 0
		.amdhsa_system_sgpr_workgroup_id_z 1
		.amdhsa_system_sgpr_workgroup_info 0
		.amdhsa_system_vgpr_workitem_id 2
		.amdhsa_next_free_vgpr 51
		.amdhsa_next_free_sgpr 73
		.amdhsa_reserve_vcc 1
		.amdhsa_reserve_flat_scratch 1
		.amdhsa_float_round_mode_32 0
		.amdhsa_float_round_mode_16_64 0
		.amdhsa_float_denorm_mode_32 3
		.amdhsa_float_denorm_mode_16_64 3
		.amdhsa_dx10_clamp 1
		.amdhsa_ieee_mode 1
		.amdhsa_fp16_overflow 0
		.amdhsa_exception_fp_ieee_invalid_op 0
		.amdhsa_exception_fp_denorm_src 0
		.amdhsa_exception_fp_ieee_div_zero 0
		.amdhsa_exception_fp_ieee_overflow 0
		.amdhsa_exception_fp_ieee_underflow 0
		.amdhsa_exception_fp_ieee_inexact 0
		.amdhsa_exception_int_div_zero 0
	.end_amdhsa_kernel
	.section	.text._ZN9rocsolver6v33100L11stedcj_sortI19rocblas_complex_numIdEdPS3_EEviPT0_lT1_iiliPiS8_,"axG",@progbits,_ZN9rocsolver6v33100L11stedcj_sortI19rocblas_complex_numIdEdPS3_EEviPT0_lT1_iiliPiS8_,comdat
.Lfunc_end34:
	.size	_ZN9rocsolver6v33100L11stedcj_sortI19rocblas_complex_numIdEdPS3_EEviPT0_lT1_iiliPiS8_, .Lfunc_end34-_ZN9rocsolver6v33100L11stedcj_sortI19rocblas_complex_numIdEdPS3_EEviPT0_lT1_iiliPiS8_
                                        ; -- End function
	.set _ZN9rocsolver6v33100L11stedcj_sortI19rocblas_complex_numIdEdPS3_EEviPT0_lT1_iiliPiS8_.num_vgpr, max(23, .L__assert_fail.num_vgpr)
	.set _ZN9rocsolver6v33100L11stedcj_sortI19rocblas_complex_numIdEdPS3_EEviPT0_lT1_iiliPiS8_.num_agpr, max(0, .L__assert_fail.num_agpr)
	.set _ZN9rocsolver6v33100L11stedcj_sortI19rocblas_complex_numIdEdPS3_EEviPT0_lT1_iiliPiS8_.numbered_sgpr, max(73, .L__assert_fail.numbered_sgpr)
	.set _ZN9rocsolver6v33100L11stedcj_sortI19rocblas_complex_numIdEdPS3_EEviPT0_lT1_iiliPiS8_.num_named_barrier, max(0, .L__assert_fail.num_named_barrier)
	.set _ZN9rocsolver6v33100L11stedcj_sortI19rocblas_complex_numIdEdPS3_EEviPT0_lT1_iiliPiS8_.private_seg_size, 0+max(.L__assert_fail.private_seg_size)
	.set _ZN9rocsolver6v33100L11stedcj_sortI19rocblas_complex_numIdEdPS3_EEviPT0_lT1_iiliPiS8_.uses_vcc, or(1, .L__assert_fail.uses_vcc)
	.set _ZN9rocsolver6v33100L11stedcj_sortI19rocblas_complex_numIdEdPS3_EEviPT0_lT1_iiliPiS8_.uses_flat_scratch, or(1, .L__assert_fail.uses_flat_scratch)
	.set _ZN9rocsolver6v33100L11stedcj_sortI19rocblas_complex_numIdEdPS3_EEviPT0_lT1_iiliPiS8_.has_dyn_sized_stack, or(0, .L__assert_fail.has_dyn_sized_stack)
	.set _ZN9rocsolver6v33100L11stedcj_sortI19rocblas_complex_numIdEdPS3_EEviPT0_lT1_iiliPiS8_.has_recursion, or(0, .L__assert_fail.has_recursion)
	.set _ZN9rocsolver6v33100L11stedcj_sortI19rocblas_complex_numIdEdPS3_EEviPT0_lT1_iiliPiS8_.has_indirect_call, or(0, .L__assert_fail.has_indirect_call)
	.section	.AMDGPU.csdata,"",@progbits
; Kernel info:
; codeLenInByte = 2388
; TotalNumSgprs: 79
; NumVgprs: 51
; ScratchSize: 64
; MemoryBound: 0
; FloatMode: 240
; IeeeMode: 1
; LDSByteSize: 4096 bytes/workgroup (compile time only)
; SGPRBlocks: 9
; VGPRBlocks: 12
; NumSGPRsForWavesPerEU: 79
; NumVGPRsForWavesPerEU: 51
; Occupancy: 4
; WaveLimiterHint : 1
; COMPUTE_PGM_RSRC2:SCRATCH_EN: 1
; COMPUTE_PGM_RSRC2:USER_SGPR: 10
; COMPUTE_PGM_RSRC2:TRAP_HANDLER: 0
; COMPUTE_PGM_RSRC2:TGID_X_EN: 1
; COMPUTE_PGM_RSRC2:TGID_Y_EN: 0
; COMPUTE_PGM_RSRC2:TGID_Z_EN: 1
; COMPUTE_PGM_RSRC2:TIDIG_COMP_CNT: 2
	.section	.AMDGPU.gpr_maximums,"",@progbits
	.set amdgpu.max_num_vgpr, 51
	.set amdgpu.max_num_agpr, 0
	.set amdgpu.max_num_sgpr, 34
	.section	.AMDGPU.csdata,"",@progbits
	.type	__const.__assert_fail.fmt,@object ; @__const.__assert_fail.fmt
	.section	.rodata.str1.16,"aMS",@progbits,1
	.p2align	4, 0x0
__const.__assert_fail.fmt:
	.asciz	"%s:%u: %s: Device-side assertion `%s' failed.\n"
	.size	__const.__assert_fail.fmt, 47

	.type	__const._ZN9rocsolver6v33100L20shell_sort_ascendingIfiEEvT0_PT_PS2_.gaps,@object ; @__const._ZN9rocsolver6v33100L20shell_sort_ascendingIfiEEvT0_PT_PS2_.gaps
	.section	.rodata.cst32,"aM",@progbits,32
	.p2align	4, 0x0
__const._ZN9rocsolver6v33100L20shell_sort_ascendingIfiEEvT0_PT_PS2_.gaps:
	.long	701                             ; 0x2bd
	.long	301                             ; 0x12d
	;; [unrolled: 1-line block ×3, first 2 shown]
	.long	57                              ; 0x39
	.long	23                              ; 0x17
	;; [unrolled: 1-line block ×3, first 2 shown]
	.long	4                               ; 0x4
	.long	1                               ; 0x1
	.size	__const._ZN9rocsolver6v33100L20shell_sort_ascendingIfiEEvT0_PT_PS2_.gaps, 32

	.type	.str.5,@object                  ; @.str.5
	.section	.rodata.str1.1,"aMS",@progbits,1
.str.5:
	.asciz	"std::isnan(a[k]) || std::isnan(a[k + 1]) || a[k] <= a[k + 1]"
	.size	.str.5, 61

	.type	.str.6,@object                  ; @.str.6
.str.6:
	.asciz	"/root/src/amdgpu-assembly/repos/ROCm__rocSOLVER/library/src/include/lib_device_helpers.hpp"
	.size	.str.6, 91

	.type	__PRETTY_FUNCTION__._ZN9rocsolver6v33100L20shell_sort_ascendingIfiEEvT0_PT_PS2_,@object ; @__PRETTY_FUNCTION__._ZN9rocsolver6v33100L20shell_sort_ascendingIfiEEvT0_PT_PS2_
__PRETTY_FUNCTION__._ZN9rocsolver6v33100L20shell_sort_ascendingIfiEEvT0_PT_PS2_:
	.asciz	"void rocsolver::shell_sort_ascending(const I, S *, I *) [S = float, I = int]"
	.size	__PRETTY_FUNCTION__._ZN9rocsolver6v33100L20shell_sort_ascendingIfiEEvT0_PT_PS2_, 77

	.type	.str.8,@object                  ; @.str.8
.str.8:
	.asciz	"std::isnan(map[k]) || map[k] == k"
	.size	.str.8, 34

	.type	__PRETTY_FUNCTION__._ZN9rocsolver6v33100L12permute_swapIfiEEvT0_PT_S2_PS2_S2_,@object ; @__PRETTY_FUNCTION__._ZN9rocsolver6v33100L12permute_swapIfiEEvT0_PT_S2_PS2_S2_
__PRETTY_FUNCTION__._ZN9rocsolver6v33100L12permute_swapIfiEEvT0_PT_S2_PS2_S2_:
	.asciz	"void rocsolver::permute_swap(const I, T *, I, I *, const I) [T = float, I = int]"
	.size	__PRETTY_FUNCTION__._ZN9rocsolver6v33100L12permute_swapIfiEEvT0_PT_S2_PS2_S2_, 81

	.type	__const._ZN9rocsolver6v33100L20shell_sort_ascendingIdiEEvT0_PT_PS2_.gaps,@object ; @__const._ZN9rocsolver6v33100L20shell_sort_ascendingIdiEEvT0_PT_PS2_.gaps
	.section	.rodata.cst32,"aM",@progbits,32
	.p2align	4, 0x0
__const._ZN9rocsolver6v33100L20shell_sort_ascendingIdiEEvT0_PT_PS2_.gaps:
	.long	701                             ; 0x2bd
	.long	301                             ; 0x12d
	;; [unrolled: 1-line block ×3, first 2 shown]
	.long	57                              ; 0x39
	.long	23                              ; 0x17
	;; [unrolled: 1-line block ×3, first 2 shown]
	.long	4                               ; 0x4
	.long	1                               ; 0x1
	.size	__const._ZN9rocsolver6v33100L20shell_sort_ascendingIdiEEvT0_PT_PS2_.gaps, 32

	.type	__PRETTY_FUNCTION__._ZN9rocsolver6v33100L20shell_sort_ascendingIdiEEvT0_PT_PS2_,@object ; @__PRETTY_FUNCTION__._ZN9rocsolver6v33100L20shell_sort_ascendingIdiEEvT0_PT_PS2_
	.section	.rodata.str1.1,"aMS",@progbits,1
__PRETTY_FUNCTION__._ZN9rocsolver6v33100L20shell_sort_ascendingIdiEEvT0_PT_PS2_:
	.asciz	"void rocsolver::shell_sort_ascending(const I, S *, I *) [S = double, I = int]"
	.size	__PRETTY_FUNCTION__._ZN9rocsolver6v33100L20shell_sort_ascendingIdiEEvT0_PT_PS2_, 78

	.type	__PRETTY_FUNCTION__._ZN9rocsolver6v33100L12permute_swapIdiEEvT0_PT_S2_PS2_S2_,@object ; @__PRETTY_FUNCTION__._ZN9rocsolver6v33100L12permute_swapIdiEEvT0_PT_S2_PS2_S2_
__PRETTY_FUNCTION__._ZN9rocsolver6v33100L12permute_swapIdiEEvT0_PT_S2_PS2_S2_:
	.asciz	"void rocsolver::permute_swap(const I, T *, I, I *, const I) [T = double, I = int]"
	.size	__PRETTY_FUNCTION__._ZN9rocsolver6v33100L12permute_swapIdiEEvT0_PT_S2_PS2_S2_, 82

	.type	__PRETTY_FUNCTION__._ZN9rocsolver6v33100L12permute_swapI19rocblas_complex_numIfEiEEvT0_PT_S4_PS4_S4_,@object ; @__PRETTY_FUNCTION__._ZN9rocsolver6v33100L12permute_swapI19rocblas_complex_numIfEiEEvT0_PT_S4_PS4_S4_
__PRETTY_FUNCTION__._ZN9rocsolver6v33100L12permute_swapI19rocblas_complex_numIfEiEEvT0_PT_S4_PS4_S4_:
	.asciz	"void rocsolver::permute_swap(const I, T *, I, I *, const I) [T = rocblas_complex_num<float>, I = int]"
	.size	__PRETTY_FUNCTION__._ZN9rocsolver6v33100L12permute_swapI19rocblas_complex_numIfEiEEvT0_PT_S4_PS4_S4_, 102

	.type	__PRETTY_FUNCTION__._ZN9rocsolver6v33100L12permute_swapI19rocblas_complex_numIdEiEEvT0_PT_S4_PS4_S4_,@object ; @__PRETTY_FUNCTION__._ZN9rocsolver6v33100L12permute_swapI19rocblas_complex_numIdEiEEvT0_PT_S4_PS4_S4_
__PRETTY_FUNCTION__._ZN9rocsolver6v33100L12permute_swapI19rocblas_complex_numIdEiEEvT0_PT_S4_PS4_S4_:
	.asciz	"void rocsolver::permute_swap(const I, T *, I, I *, const I) [T = rocblas_complex_num<double>, I = int]"
	.size	__PRETTY_FUNCTION__._ZN9rocsolver6v33100L12permute_swapI19rocblas_complex_numIdEiEEvT0_PT_S4_PS4_S4_, 103

	.type	__hip_cuid_7e9d6fe371192bfb,@object ; @__hip_cuid_7e9d6fe371192bfb
	.section	.bss,"aw",@nobits
	.globl	__hip_cuid_7e9d6fe371192bfb
__hip_cuid_7e9d6fe371192bfb:
	.byte	0                               ; 0x0
	.size	__hip_cuid_7e9d6fe371192bfb, 1

	.ident	"AMD clang version 22.0.0git (https://github.com/RadeonOpenCompute/llvm-project roc-7.2.4 26084 f58b06dce1f9c15707c5f808fd002e18c2accf7e)"
	.section	".note.GNU-stack","",@progbits
	.addrsig
	.addrsig_sym __hip_cuid_7e9d6fe371192bfb
	.amdgpu_metadata
---
amdhsa.kernels:
  - .args:
      - .address_space:  global
        .offset:         0
        .size:           8
        .value_kind:     global_buffer
      - .offset:         8
        .size:           4
        .value_kind:     by_value
      - .offset:         12
        .size:           4
        .value_kind:     by_value
      - .offset:         16
        .size:           4
        .value_kind:     by_value
      - .offset:         24
        .size:           4
        .value_kind:     hidden_block_count_x
      - .offset:         28
        .size:           4
        .value_kind:     hidden_block_count_y
      - .offset:         32
        .size:           4
        .value_kind:     hidden_block_count_z
      - .offset:         36
        .size:           2
        .value_kind:     hidden_group_size_x
      - .offset:         38
        .size:           2
        .value_kind:     hidden_group_size_y
      - .offset:         40
        .size:           2
        .value_kind:     hidden_group_size_z
      - .offset:         42
        .size:           2
        .value_kind:     hidden_remainder_x
      - .offset:         44
        .size:           2
        .value_kind:     hidden_remainder_y
      - .offset:         46
        .size:           2
        .value_kind:     hidden_remainder_z
      - .offset:         64
        .size:           8
        .value_kind:     hidden_global_offset_x
      - .offset:         72
        .size:           8
        .value_kind:     hidden_global_offset_y
      - .offset:         80
        .size:           8
        .value_kind:     hidden_global_offset_z
      - .offset:         88
        .size:           2
        .value_kind:     hidden_grid_dims
    .group_segment_fixed_size: 0
    .kernarg_segment_align: 8
    .kernarg_segment_size: 280
    .language:       OpenCL C
    .language_version:
      - 2
      - 0
    .max_flat_workgroup_size: 1024
    .name:           _ZN9rocsolver6v33100L10reset_infoIiiiEEvPT_T0_T1_S4_
    .private_segment_fixed_size: 0
    .sgpr_count:     12
    .sgpr_spill_count: 0
    .symbol:         _ZN9rocsolver6v33100L10reset_infoIiiiEEvPT_T0_T1_S4_.kd
    .uniform_work_group_size: 1
    .uses_dynamic_stack: false
    .vgpr_count:     4
    .vgpr_spill_count: 0
    .wavefront_size: 64
  - .args:
      - .address_space:  global
        .offset:         0
        .size:           8
        .value_kind:     global_buffer
      - .offset:         8
        .size:           8
        .value_kind:     by_value
      - .offset:         16
        .size:           4
        .value_kind:     by_value
      - .offset:         20
        .size:           4
        .value_kind:     by_value
      - .offset:         24
        .size:           4
        .value_kind:     hidden_block_count_x
      - .offset:         28
        .size:           4
        .value_kind:     hidden_block_count_y
      - .offset:         32
        .size:           4
        .value_kind:     hidden_block_count_z
      - .offset:         36
        .size:           2
        .value_kind:     hidden_group_size_x
      - .offset:         38
        .size:           2
        .value_kind:     hidden_group_size_y
      - .offset:         40
        .size:           2
        .value_kind:     hidden_group_size_z
      - .offset:         42
        .size:           2
        .value_kind:     hidden_remainder_x
      - .offset:         44
        .size:           2
        .value_kind:     hidden_remainder_y
      - .offset:         46
        .size:           2
        .value_kind:     hidden_remainder_z
      - .offset:         64
        .size:           8
        .value_kind:     hidden_global_offset_x
      - .offset:         72
        .size:           8
        .value_kind:     hidden_global_offset_y
      - .offset:         80
        .size:           8
        .value_kind:     hidden_global_offset_z
      - .offset:         88
        .size:           2
        .value_kind:     hidden_grid_dims
    .group_segment_fixed_size: 0
    .kernarg_segment_align: 8
    .kernarg_segment_size: 280
    .language:       OpenCL C
    .language_version:
      - 2
      - 0
    .max_flat_workgroup_size: 1024
    .name:           _ZN9rocsolver6v33100L16reset_batch_infoIfiiPfEEvT2_lT0_T1_
    .private_segment_fixed_size: 0
    .sgpr_count:     16
    .sgpr_spill_count: 0
    .symbol:         _ZN9rocsolver6v33100L16reset_batch_infoIfiiPfEEvT2_lT0_T1_.kd
    .uniform_work_group_size: 1
    .uses_dynamic_stack: false
    .vgpr_count:     4
    .vgpr_spill_count: 0
    .wavefront_size: 64
  - .args:
      - .offset:         0
        .size:           4
        .value_kind:     by_value
      - .offset:         4
        .size:           4
        .value_kind:     by_value
      - .address_space:  global
        .offset:         8
        .size:           8
        .value_kind:     global_buffer
      - .offset:         16
        .size:           4
        .value_kind:     by_value
      - .offset:         20
        .size:           4
        .value_kind:     by_value
      - .offset:         24
        .size:           8
        .value_kind:     by_value
      - .offset:         32
        .size:           4
        .value_kind:     hidden_block_count_x
      - .offset:         36
        .size:           4
        .value_kind:     hidden_block_count_y
      - .offset:         40
        .size:           4
        .value_kind:     hidden_block_count_z
      - .offset:         44
        .size:           2
        .value_kind:     hidden_group_size_x
      - .offset:         46
        .size:           2
        .value_kind:     hidden_group_size_y
      - .offset:         48
        .size:           2
        .value_kind:     hidden_group_size_z
      - .offset:         50
        .size:           2
        .value_kind:     hidden_remainder_x
      - .offset:         52
        .size:           2
        .value_kind:     hidden_remainder_y
      - .offset:         54
        .size:           2
        .value_kind:     hidden_remainder_z
      - .offset:         72
        .size:           8
        .value_kind:     hidden_global_offset_x
      - .offset:         80
        .size:           8
        .value_kind:     hidden_global_offset_y
      - .offset:         88
        .size:           8
        .value_kind:     hidden_global_offset_z
      - .offset:         96
        .size:           2
        .value_kind:     hidden_grid_dims
    .group_segment_fixed_size: 0
    .kernarg_segment_align: 8
    .kernarg_segment_size: 288
    .language:       OpenCL C
    .language_version:
      - 2
      - 0
    .max_flat_workgroup_size: 1024
    .name:           _ZN9rocsolver6v33100L10init_identIfPfEEviiT0_iil
    .private_segment_fixed_size: 0
    .sgpr_count:     13
    .sgpr_spill_count: 0
    .symbol:         _ZN9rocsolver6v33100L10init_identIfPfEEviiT0_iil.kd
    .uniform_work_group_size: 1
    .uses_dynamic_stack: false
    .vgpr_count:     4
    .vgpr_spill_count: 0
    .wavefront_size: 64
  - .args:
      - .offset:         0
        .size:           4
        .value_kind:     by_value
      - .address_space:  global
        .offset:         8
        .size:           8
        .value_kind:     global_buffer
      - .offset:         16
        .size:           8
        .value_kind:     by_value
      - .address_space:  global
        .offset:         24
        .size:           8
        .value_kind:     global_buffer
      - .offset:         32
        .size:           8
        .value_kind:     by_value
      - .address_space:  global
        .offset:         40
        .size:           8
        .value_kind:     global_buffer
      - .offset:         48
        .size:           4
        .value_kind:     by_value
    .group_segment_fixed_size: 0
    .kernarg_segment_align: 8
    .kernarg_segment_size: 52
    .language:       OpenCL C
    .language_version:
      - 2
      - 0
    .max_flat_workgroup_size: 1024
    .name:           _ZN9rocsolver6v33100L12stedcj_splitIfEEviPT_lS3_lPiS2_
    .private_segment_fixed_size: 0
    .sgpr_count:     32
    .sgpr_spill_count: 0
    .symbol:         _ZN9rocsolver6v33100L12stedcj_splitIfEEviPT_lS3_lPiS2_.kd
    .uniform_work_group_size: 1
    .uses_dynamic_stack: false
    .vgpr_count:     9
    .vgpr_spill_count: 0
    .wavefront_size: 64
  - .args:
      - .offset:         0
        .size:           4
        .value_kind:     by_value
      - .address_space:  global
        .offset:         8
        .size:           8
        .value_kind:     global_buffer
      - .offset:         16
        .size:           8
        .value_kind:     by_value
      - .address_space:  global
        .offset:         24
        .size:           8
        .value_kind:     global_buffer
      - .offset:         32
        .size:           8
        .value_kind:     by_value
      - .address_space:  global
        .offset:         40
        .size:           8
        .value_kind:     global_buffer
    .group_segment_fixed_size: 0
    .kernarg_segment_align: 8
    .kernarg_segment_size: 48
    .language:       OpenCL C
    .language_version:
      - 2
      - 0
    .max_flat_workgroup_size: 512
    .name:           _ZN9rocsolver6v33100L20stedcj_divide_kernelIfEEviPT_lS3_lPi
    .private_segment_fixed_size: 0
    .sgpr_count:     34
    .sgpr_spill_count: 0
    .symbol:         _ZN9rocsolver6v33100L20stedcj_divide_kernelIfEEviPT_lS3_lPi.kd
    .uniform_work_group_size: 1
    .uses_dynamic_stack: false
    .vgpr_count:     22
    .vgpr_spill_count: 0
    .wavefront_size: 64
  - .args:
      - .offset:         0
        .size:           4
        .value_kind:     by_value
      - .address_space:  global
        .offset:         8
        .size:           8
        .value_kind:     global_buffer
      - .offset:         16
        .size:           8
        .value_kind:     by_value
      - .address_space:  global
        .offset:         24
        .size:           8
        .value_kind:     global_buffer
      - .offset:         32
        .size:           8
        .value_kind:     by_value
      - .address_space:  global
        .offset:         40
        .size:           8
        .value_kind:     global_buffer
      - .offset:         48
        .size:           4
        .value_kind:     by_value
      - .offset:         52
        .size:           4
        .value_kind:     by_value
      - .offset:         56
        .size:           8
        .value_kind:     by_value
      - .address_space:  global
        .offset:         64
        .size:           8
        .value_kind:     global_buffer
      - .address_space:  global
        .offset:         72
        .size:           8
        .value_kind:     global_buffer
      - .address_space:  global
        .offset:         80
        .size:           8
        .value_kind:     global_buffer
      - .offset:         88
        .size:           4
        .value_kind:     by_value
      - .offset:         92
        .size:           4
        .value_kind:     by_value
      - .offset:         96
        .size:           4
        .value_kind:     by_value
    .group_segment_fixed_size: 0
    .kernarg_segment_align: 8
    .kernarg_segment_size: 100
    .language:       OpenCL C
    .language_version:
      - 2
      - 0
    .max_flat_workgroup_size: 512
    .name:           _ZN9rocsolver6v33100L19stedcj_solve_kernelIfEEviPT_lS3_lS3_iilPiS3_S4_S2_S2_S2_
    .private_segment_fixed_size: 0
    .sgpr_count:     88
    .sgpr_spill_count: 0
    .symbol:         _ZN9rocsolver6v33100L19stedcj_solve_kernelIfEEviPT_lS3_lS3_iilPiS3_S4_S2_S2_S2_.kd
    .uniform_work_group_size: 1
    .uses_dynamic_stack: false
    .vgpr_count:     40
    .vgpr_spill_count: 0
    .wavefront_size: 64
  - .args:
      - .offset:         0
        .size:           4
        .value_kind:     by_value
      - .offset:         4
        .size:           4
        .value_kind:     by_value
      - .address_space:  global
        .offset:         8
        .size:           8
        .value_kind:     global_buffer
      - .offset:         16
        .size:           8
        .value_kind:     by_value
      - .address_space:  global
        .offset:         24
        .size:           8
        .value_kind:     global_buffer
      - .offset:         32
        .size:           8
        .value_kind:     by_value
      - .address_space:  global
        .offset:         40
        .size:           8
        .value_kind:     global_buffer
      - .offset:         48
        .size:           4
        .value_kind:     by_value
      - .offset:         52
        .size:           4
        .value_kind:     by_value
      - .offset:         56
        .size:           8
        .value_kind:     by_value
      - .address_space:  global
        .offset:         64
        .size:           8
        .value_kind:     global_buffer
      - .address_space:  global
        .offset:         72
        .size:           8
        .value_kind:     global_buffer
      - .address_space:  global
        .offset:         80
        .size:           8
        .value_kind:     global_buffer
      - .offset:         88
        .size:           4
        .value_kind:     by_value
      - .offset:         96
        .size:           4
        .value_kind:     hidden_block_count_x
      - .offset:         100
        .size:           4
        .value_kind:     hidden_block_count_y
      - .offset:         104
        .size:           4
        .value_kind:     hidden_block_count_z
      - .offset:         108
        .size:           2
        .value_kind:     hidden_group_size_x
      - .offset:         110
        .size:           2
        .value_kind:     hidden_group_size_y
      - .offset:         112
        .size:           2
        .value_kind:     hidden_group_size_z
      - .offset:         114
        .size:           2
        .value_kind:     hidden_remainder_x
      - .offset:         116
        .size:           2
        .value_kind:     hidden_remainder_y
      - .offset:         118
        .size:           2
        .value_kind:     hidden_remainder_z
      - .offset:         136
        .size:           8
        .value_kind:     hidden_global_offset_x
      - .offset:         144
        .size:           8
        .value_kind:     hidden_global_offset_y
      - .offset:         152
        .size:           8
        .value_kind:     hidden_global_offset_z
      - .offset:         160
        .size:           2
        .value_kind:     hidden_grid_dims
      - .offset:         216
        .size:           4
        .value_kind:     hidden_dynamic_lds_size
    .group_segment_fixed_size: 0
    .kernarg_segment_align: 8
    .kernarg_segment_size: 352
    .language:       OpenCL C
    .language_version:
      - 2
      - 0
    .max_flat_workgroup_size: 512
    .name:           _ZN9rocsolver6v33100L26stedcj_mergePrepare_kernelIfEEviiPT_lS3_lS3_iilS3_S3_PiS2_
    .private_segment_fixed_size: 0
    .sgpr_count:     84
    .sgpr_spill_count: 0
    .symbol:         _ZN9rocsolver6v33100L26stedcj_mergePrepare_kernelIfEEviiPT_lS3_lS3_iilS3_S3_PiS2_.kd
    .uniform_work_group_size: 1
    .uses_dynamic_stack: false
    .vgpr_count:     32
    .vgpr_spill_count: 0
    .wavefront_size: 64
  - .args:
      - .offset:         0
        .size:           4
        .value_kind:     by_value
      - .offset:         4
        .size:           4
        .value_kind:     by_value
      - .address_space:  global
        .offset:         8
        .size:           8
        .value_kind:     global_buffer
      - .offset:         16
        .size:           8
        .value_kind:     by_value
      - .address_space:  global
        .offset:         24
        .size:           8
        .value_kind:     global_buffer
      - .offset:         32
        .size:           8
        .value_kind:     by_value
      - .address_space:  global
        .offset:         40
        .size:           8
        .value_kind:     global_buffer
      - .address_space:  global
        .offset:         48
        .size:           8
        .value_kind:     global_buffer
      - .address_space:  global
        .offset:         56
        .size:           8
        .value_kind:     global_buffer
      - .offset:         64
        .size:           4
        .value_kind:     by_value
      - .offset:         68
        .size:           4
        .value_kind:     by_value
      - .offset:         72
        .size:           4
        .value_kind:     by_value
      - .offset:         80
        .size:           4
        .value_kind:     hidden_block_count_x
      - .offset:         84
        .size:           4
        .value_kind:     hidden_block_count_y
      - .offset:         88
        .size:           4
        .value_kind:     hidden_block_count_z
      - .offset:         92
        .size:           2
        .value_kind:     hidden_group_size_x
      - .offset:         94
        .size:           2
        .value_kind:     hidden_group_size_y
      - .offset:         96
        .size:           2
        .value_kind:     hidden_group_size_z
      - .offset:         98
        .size:           2
        .value_kind:     hidden_remainder_x
      - .offset:         100
        .size:           2
        .value_kind:     hidden_remainder_y
      - .offset:         102
        .size:           2
        .value_kind:     hidden_remainder_z
      - .offset:         120
        .size:           8
        .value_kind:     hidden_global_offset_x
      - .offset:         128
        .size:           8
        .value_kind:     hidden_global_offset_y
      - .offset:         136
        .size:           8
        .value_kind:     hidden_global_offset_z
      - .offset:         144
        .size:           2
        .value_kind:     hidden_grid_dims
    .group_segment_fixed_size: 0
    .kernarg_segment_align: 8
    .kernarg_segment_size: 336
    .language:       OpenCL C
    .language_version:
      - 2
      - 0
    .max_flat_workgroup_size: 512
    .name:           _ZN9rocsolver6v33100L25stedcj_mergeValues_kernelIfEEviiPT_lS3_lS3_S3_PiS2_S2_S2_
    .private_segment_fixed_size: 0
    .sgpr_count:     100
    .sgpr_spill_count: 35
    .symbol:         _ZN9rocsolver6v33100L25stedcj_mergeValues_kernelIfEEviiPT_lS3_lS3_S3_PiS2_S2_S2_.kd
    .uniform_work_group_size: 1
    .uses_dynamic_stack: false
    .vgpr_count:     55
    .vgpr_spill_count: 0
    .wavefront_size: 64
  - .args:
      - .offset:         0
        .size:           4
        .value_kind:     by_value
      - .offset:         4
        .size:           4
        .value_kind:     by_value
      - .address_space:  global
        .offset:         8
        .size:           8
        .value_kind:     global_buffer
      - .offset:         16
        .size:           8
        .value_kind:     by_value
      - .address_space:  global
        .offset:         24
        .size:           8
        .value_kind:     global_buffer
      - .offset:         32
        .size:           8
        .value_kind:     by_value
      - .address_space:  global
        .offset:         40
        .size:           8
        .value_kind:     global_buffer
      - .offset:         48
        .size:           4
        .value_kind:     by_value
      - .offset:         52
        .size:           4
        .value_kind:     by_value
      - .offset:         56
        .size:           8
        .value_kind:     by_value
      - .address_space:  global
        .offset:         64
        .size:           8
        .value_kind:     global_buffer
      - .address_space:  global
        .offset:         72
        .size:           8
        .value_kind:     global_buffer
      - .address_space:  global
        .offset:         80
        .size:           8
        .value_kind:     global_buffer
      - .offset:         88
        .size:           4
        .value_kind:     hidden_block_count_x
      - .offset:         92
        .size:           4
        .value_kind:     hidden_block_count_y
      - .offset:         96
        .size:           4
        .value_kind:     hidden_block_count_z
      - .offset:         100
        .size:           2
        .value_kind:     hidden_group_size_x
      - .offset:         102
        .size:           2
        .value_kind:     hidden_group_size_y
      - .offset:         104
        .size:           2
        .value_kind:     hidden_group_size_z
      - .offset:         106
        .size:           2
        .value_kind:     hidden_remainder_x
      - .offset:         108
        .size:           2
        .value_kind:     hidden_remainder_y
      - .offset:         110
        .size:           2
        .value_kind:     hidden_remainder_z
      - .offset:         128
        .size:           8
        .value_kind:     hidden_global_offset_x
      - .offset:         136
        .size:           8
        .value_kind:     hidden_global_offset_y
      - .offset:         144
        .size:           8
        .value_kind:     hidden_global_offset_z
      - .offset:         152
        .size:           2
        .value_kind:     hidden_grid_dims
      - .offset:         208
        .size:           4
        .value_kind:     hidden_dynamic_lds_size
    .group_segment_fixed_size: 0
    .kernarg_segment_align: 8
    .kernarg_segment_size: 344
    .language:       OpenCL C
    .language_version:
      - 2
      - 0
    .max_flat_workgroup_size: 512
    .name:           _ZN9rocsolver6v33100L26stedcj_mergeVectors_kernelILb0EfEEviiPT0_lS3_lS3_iilS3_S3_Pi
    .private_segment_fixed_size: 0
    .sgpr_count:     63
    .sgpr_spill_count: 0
    .symbol:         _ZN9rocsolver6v33100L26stedcj_mergeVectors_kernelILb0EfEEviiPT0_lS3_lS3_iilS3_S3_Pi.kd
    .uniform_work_group_size: 1
    .uses_dynamic_stack: false
    .vgpr_count:     24
    .vgpr_spill_count: 0
    .wavefront_size: 64
  - .args:
      - .offset:         0
        .size:           4
        .value_kind:     by_value
      - .offset:         4
        .size:           4
        .value_kind:     by_value
      - .address_space:  global
        .offset:         8
        .size:           8
        .value_kind:     global_buffer
      - .offset:         16
        .size:           8
        .value_kind:     by_value
      - .address_space:  global
        .offset:         24
        .size:           8
        .value_kind:     global_buffer
      - .offset:         32
        .size:           4
        .value_kind:     by_value
      - .offset:         36
        .size:           4
        .value_kind:     by_value
      - .offset:         40
        .size:           8
        .value_kind:     by_value
      - .address_space:  global
        .offset:         48
        .size:           8
        .value_kind:     global_buffer
      - .address_space:  global
        .offset:         56
        .size:           8
        .value_kind:     global_buffer
      - .address_space:  global
        .offset:         64
        .size:           8
        .value_kind:     global_buffer
      - .offset:         72
        .size:           4
        .value_kind:     hidden_block_count_x
      - .offset:         76
        .size:           4
        .value_kind:     hidden_block_count_y
      - .offset:         80
        .size:           4
        .value_kind:     hidden_block_count_z
      - .offset:         84
        .size:           2
        .value_kind:     hidden_group_size_x
      - .offset:         86
        .size:           2
        .value_kind:     hidden_group_size_y
      - .offset:         88
        .size:           2
        .value_kind:     hidden_group_size_z
      - .offset:         90
        .size:           2
        .value_kind:     hidden_remainder_x
      - .offset:         92
        .size:           2
        .value_kind:     hidden_remainder_y
      - .offset:         94
        .size:           2
        .value_kind:     hidden_remainder_z
      - .offset:         112
        .size:           8
        .value_kind:     hidden_global_offset_x
      - .offset:         120
        .size:           8
        .value_kind:     hidden_global_offset_y
      - .offset:         128
        .size:           8
        .value_kind:     hidden_global_offset_z
      - .offset:         136
        .size:           2
        .value_kind:     hidden_grid_dims
    .group_segment_fixed_size: 0
    .kernarg_segment_align: 8
    .kernarg_segment_size: 328
    .language:       OpenCL C
    .language_version:
      - 2
      - 0
    .max_flat_workgroup_size: 512
    .name:           _ZN9rocsolver6v33100L25stedcj_mergeUpdate_kernelIfEEviiPT_lS3_iilS3_S3_Pi
    .private_segment_fixed_size: 0
    .sgpr_count:     51
    .sgpr_spill_count: 0
    .symbol:         _ZN9rocsolver6v33100L25stedcj_mergeUpdate_kernelIfEEviiPT_lS3_iilS3_S3_Pi.kd
    .uniform_work_group_size: 1
    .uses_dynamic_stack: false
    .vgpr_count:     13
    .vgpr_spill_count: 0
    .wavefront_size: 64
  - .args:
      - .offset:         0
        .size:           4
        .value_kind:     by_value
      - .offset:         4
        .size:           4
        .value_kind:     by_value
      - .offset:         8
        .size:           4
        .value_kind:     by_value
      - .address_space:  global
        .offset:         16
        .size:           8
        .value_kind:     global_buffer
      - .offset:         24
        .size:           4
        .value_kind:     by_value
      - .offset:         28
        .size:           4
        .value_kind:     by_value
      - .offset:         32
        .size:           8
        .value_kind:     by_value
      - .address_space:  global
        .offset:         40
        .size:           8
        .value_kind:     global_buffer
      - .offset:         48
        .size:           1
        .value_kind:     by_value
      - .offset:         52
        .size:           4
        .value_kind:     by_value
      - .offset:         56
        .size:           4
        .value_kind:     by_value
      - .offset:         64
        .size:           4
        .value_kind:     hidden_block_count_x
      - .offset:         68
        .size:           4
        .value_kind:     hidden_block_count_y
      - .offset:         72
        .size:           4
        .value_kind:     hidden_block_count_z
      - .offset:         76
        .size:           2
        .value_kind:     hidden_group_size_x
      - .offset:         78
        .size:           2
        .value_kind:     hidden_group_size_y
      - .offset:         80
        .size:           2
        .value_kind:     hidden_group_size_z
      - .offset:         82
        .size:           2
        .value_kind:     hidden_remainder_x
      - .offset:         84
        .size:           2
        .value_kind:     hidden_remainder_y
      - .offset:         86
        .size:           2
        .value_kind:     hidden_remainder_z
      - .offset:         104
        .size:           8
        .value_kind:     hidden_global_offset_x
      - .offset:         112
        .size:           8
        .value_kind:     hidden_global_offset_y
      - .offset:         120
        .size:           8
        .value_kind:     hidden_global_offset_z
      - .offset:         128
        .size:           2
        .value_kind:     hidden_grid_dims
    .group_segment_fixed_size: 0
    .kernarg_segment_align: 8
    .kernarg_segment_size: 320
    .language:       OpenCL C
    .language_version:
      - 2
      - 0
    .max_flat_workgroup_size: 1024
    .name:           _ZN9rocsolver6v33100L8copy_matIfPfNS0_7no_maskEEEvNS0_17copymat_directionEiiT0_iilPT_T1_13rocblas_fill_17rocblas_diagonal_
    .private_segment_fixed_size: 0
    .sgpr_count:     28
    .sgpr_spill_count: 0
    .symbol:         _ZN9rocsolver6v33100L8copy_matIfPfNS0_7no_maskEEEvNS0_17copymat_directionEiiT0_iilPT_T1_13rocblas_fill_17rocblas_diagonal_.kd
    .uniform_work_group_size: 1
    .uses_dynamic_stack: false
    .vgpr_count:     6
    .vgpr_spill_count: 0
    .wavefront_size: 64
  - .args:
      - .offset:         0
        .size:           4
        .value_kind:     by_value
      - .address_space:  global
        .offset:         8
        .size:           8
        .value_kind:     global_buffer
      - .offset:         16
        .size:           8
        .value_kind:     by_value
      - .address_space:  global
        .offset:         24
        .size:           8
        .value_kind:     global_buffer
      - .offset:         32
        .size:           4
        .value_kind:     by_value
      - .offset:         36
        .size:           4
        .value_kind:     by_value
      - .offset:         40
        .size:           8
        .value_kind:     by_value
      - .offset:         48
        .size:           4
        .value_kind:     by_value
      - .address_space:  global
        .offset:         56
        .size:           8
        .value_kind:     global_buffer
      - .address_space:  global
        .offset:         64
        .size:           8
        .value_kind:     global_buffer
      - .offset:         72
        .size:           4
        .value_kind:     hidden_block_count_x
      - .offset:         76
        .size:           4
        .value_kind:     hidden_block_count_y
      - .offset:         80
        .size:           4
        .value_kind:     hidden_block_count_z
      - .offset:         84
        .size:           2
        .value_kind:     hidden_group_size_x
      - .offset:         86
        .size:           2
        .value_kind:     hidden_group_size_y
      - .offset:         88
        .size:           2
        .value_kind:     hidden_group_size_z
      - .offset:         90
        .size:           2
        .value_kind:     hidden_remainder_x
      - .offset:         92
        .size:           2
        .value_kind:     hidden_remainder_y
      - .offset:         94
        .size:           2
        .value_kind:     hidden_remainder_z
      - .offset:         112
        .size:           8
        .value_kind:     hidden_global_offset_x
      - .offset:         120
        .size:           8
        .value_kind:     hidden_global_offset_y
      - .offset:         128
        .size:           8
        .value_kind:     hidden_global_offset_z
      - .offset:         136
        .size:           2
        .value_kind:     hidden_grid_dims
      - .offset:         152
        .size:           8
        .value_kind:     hidden_hostcall_buffer
    .group_segment_fixed_size: 0
    .kernarg_segment_align: 8
    .kernarg_segment_size: 328
    .language:       OpenCL C
    .language_version:
      - 2
      - 0
    .max_flat_workgroup_size: 256
    .name:           _ZN9rocsolver6v33100L11stedcj_sortIffPfEEviPT0_lT1_iiliPiS6_
    .private_segment_fixed_size: 64
    .sgpr_count:     79
    .sgpr_spill_count: 0
    .symbol:         _ZN9rocsolver6v33100L11stedcj_sortIffPfEEviPT0_lT1_iiliPiS6_.kd
    .uniform_work_group_size: 1
    .uses_dynamic_stack: false
    .vgpr_count:     51
    .vgpr_spill_count: 0
    .wavefront_size: 64
  - .args:
      - .address_space:  global
        .offset:         0
        .size:           8
        .value_kind:     global_buffer
      - .offset:         8
        .size:           8
        .value_kind:     by_value
      - .offset:         16
        .size:           4
        .value_kind:     by_value
      - .offset:         20
        .size:           4
        .value_kind:     by_value
      - .offset:         24
        .size:           4
        .value_kind:     hidden_block_count_x
      - .offset:         28
        .size:           4
        .value_kind:     hidden_block_count_y
      - .offset:         32
        .size:           4
        .value_kind:     hidden_block_count_z
      - .offset:         36
        .size:           2
        .value_kind:     hidden_group_size_x
      - .offset:         38
        .size:           2
        .value_kind:     hidden_group_size_y
      - .offset:         40
        .size:           2
        .value_kind:     hidden_group_size_z
      - .offset:         42
        .size:           2
        .value_kind:     hidden_remainder_x
      - .offset:         44
        .size:           2
        .value_kind:     hidden_remainder_y
      - .offset:         46
        .size:           2
        .value_kind:     hidden_remainder_z
      - .offset:         64
        .size:           8
        .value_kind:     hidden_global_offset_x
      - .offset:         72
        .size:           8
        .value_kind:     hidden_global_offset_y
      - .offset:         80
        .size:           8
        .value_kind:     hidden_global_offset_z
      - .offset:         88
        .size:           2
        .value_kind:     hidden_grid_dims
    .group_segment_fixed_size: 0
    .kernarg_segment_align: 8
    .kernarg_segment_size: 280
    .language:       OpenCL C
    .language_version:
      - 2
      - 0
    .max_flat_workgroup_size: 1024
    .name:           _ZN9rocsolver6v33100L16reset_batch_infoIdiiPdEEvT2_lT0_T1_
    .private_segment_fixed_size: 0
    .sgpr_count:     16
    .sgpr_spill_count: 0
    .symbol:         _ZN9rocsolver6v33100L16reset_batch_infoIdiiPdEEvT2_lT0_T1_.kd
    .uniform_work_group_size: 1
    .uses_dynamic_stack: false
    .vgpr_count:     5
    .vgpr_spill_count: 0
    .wavefront_size: 64
  - .args:
      - .offset:         0
        .size:           4
        .value_kind:     by_value
      - .offset:         4
        .size:           4
        .value_kind:     by_value
      - .address_space:  global
        .offset:         8
        .size:           8
        .value_kind:     global_buffer
      - .offset:         16
        .size:           4
        .value_kind:     by_value
      - .offset:         20
        .size:           4
        .value_kind:     by_value
      - .offset:         24
        .size:           8
        .value_kind:     by_value
      - .offset:         32
        .size:           4
        .value_kind:     hidden_block_count_x
      - .offset:         36
        .size:           4
        .value_kind:     hidden_block_count_y
      - .offset:         40
        .size:           4
        .value_kind:     hidden_block_count_z
      - .offset:         44
        .size:           2
        .value_kind:     hidden_group_size_x
      - .offset:         46
        .size:           2
        .value_kind:     hidden_group_size_y
      - .offset:         48
        .size:           2
        .value_kind:     hidden_group_size_z
      - .offset:         50
        .size:           2
        .value_kind:     hidden_remainder_x
      - .offset:         52
        .size:           2
        .value_kind:     hidden_remainder_y
      - .offset:         54
        .size:           2
        .value_kind:     hidden_remainder_z
      - .offset:         72
        .size:           8
        .value_kind:     hidden_global_offset_x
      - .offset:         80
        .size:           8
        .value_kind:     hidden_global_offset_y
      - .offset:         88
        .size:           8
        .value_kind:     hidden_global_offset_z
      - .offset:         96
        .size:           2
        .value_kind:     hidden_grid_dims
    .group_segment_fixed_size: 0
    .kernarg_segment_align: 8
    .kernarg_segment_size: 288
    .language:       OpenCL C
    .language_version:
      - 2
      - 0
    .max_flat_workgroup_size: 1024
    .name:           _ZN9rocsolver6v33100L10init_identIdPdEEviiT0_iil
    .private_segment_fixed_size: 0
    .sgpr_count:     13
    .sgpr_spill_count: 0
    .symbol:         _ZN9rocsolver6v33100L10init_identIdPdEEviiT0_iil.kd
    .uniform_work_group_size: 1
    .uses_dynamic_stack: false
    .vgpr_count:     6
    .vgpr_spill_count: 0
    .wavefront_size: 64
  - .args:
      - .offset:         0
        .size:           4
        .value_kind:     by_value
      - .address_space:  global
        .offset:         8
        .size:           8
        .value_kind:     global_buffer
      - .offset:         16
        .size:           8
        .value_kind:     by_value
      - .address_space:  global
        .offset:         24
        .size:           8
        .value_kind:     global_buffer
      - .offset:         32
        .size:           8
        .value_kind:     by_value
      - .address_space:  global
        .offset:         40
        .size:           8
        .value_kind:     global_buffer
      - .offset:         48
        .size:           8
        .value_kind:     by_value
    .group_segment_fixed_size: 0
    .kernarg_segment_align: 8
    .kernarg_segment_size: 56
    .language:       OpenCL C
    .language_version:
      - 2
      - 0
    .max_flat_workgroup_size: 1024
    .name:           _ZN9rocsolver6v33100L12stedcj_splitIdEEviPT_lS3_lPiS2_
    .private_segment_fixed_size: 0
    .sgpr_count:     34
    .sgpr_spill_count: 0
    .symbol:         _ZN9rocsolver6v33100L12stedcj_splitIdEEviPT_lS3_lPiS2_.kd
    .uniform_work_group_size: 1
    .uses_dynamic_stack: false
    .vgpr_count:     18
    .vgpr_spill_count: 0
    .wavefront_size: 64
  - .args:
      - .offset:         0
        .size:           4
        .value_kind:     by_value
      - .address_space:  global
        .offset:         8
        .size:           8
        .value_kind:     global_buffer
      - .offset:         16
        .size:           8
        .value_kind:     by_value
      - .address_space:  global
        .offset:         24
        .size:           8
        .value_kind:     global_buffer
      - .offset:         32
        .size:           8
        .value_kind:     by_value
      - .address_space:  global
        .offset:         40
        .size:           8
        .value_kind:     global_buffer
    .group_segment_fixed_size: 0
    .kernarg_segment_align: 8
    .kernarg_segment_size: 48
    .language:       OpenCL C
    .language_version:
      - 2
      - 0
    .max_flat_workgroup_size: 512
    .name:           _ZN9rocsolver6v33100L20stedcj_divide_kernelIdEEviPT_lS3_lPi
    .private_segment_fixed_size: 0
    .sgpr_count:     34
    .sgpr_spill_count: 0
    .symbol:         _ZN9rocsolver6v33100L20stedcj_divide_kernelIdEEviPT_lS3_lPi.kd
    .uniform_work_group_size: 1
    .uses_dynamic_stack: false
    .vgpr_count:     22
    .vgpr_spill_count: 0
    .wavefront_size: 64
  - .args:
      - .offset:         0
        .size:           4
        .value_kind:     by_value
      - .address_space:  global
        .offset:         8
        .size:           8
        .value_kind:     global_buffer
      - .offset:         16
        .size:           8
        .value_kind:     by_value
      - .address_space:  global
        .offset:         24
        .size:           8
        .value_kind:     global_buffer
      - .offset:         32
        .size:           8
        .value_kind:     by_value
      - .address_space:  global
        .offset:         40
        .size:           8
        .value_kind:     global_buffer
      - .offset:         48
        .size:           4
        .value_kind:     by_value
      - .offset:         52
        .size:           4
        .value_kind:     by_value
      - .offset:         56
        .size:           8
        .value_kind:     by_value
      - .address_space:  global
        .offset:         64
        .size:           8
        .value_kind:     global_buffer
      - .address_space:  global
        .offset:         72
        .size:           8
        .value_kind:     global_buffer
      - .address_space:  global
        .offset:         80
        .size:           8
        .value_kind:     global_buffer
      - .offset:         88
        .size:           8
        .value_kind:     by_value
      - .offset:         96
        .size:           8
        .value_kind:     by_value
      - .offset:         104
        .size:           8
        .value_kind:     by_value
    .group_segment_fixed_size: 0
    .kernarg_segment_align: 8
    .kernarg_segment_size: 112
    .language:       OpenCL C
    .language_version:
      - 2
      - 0
    .max_flat_workgroup_size: 512
    .name:           _ZN9rocsolver6v33100L19stedcj_solve_kernelIdEEviPT_lS3_lS3_iilPiS3_S4_S2_S2_S2_
    .private_segment_fixed_size: 0
    .sgpr_count:     92
    .sgpr_spill_count: 0
    .symbol:         _ZN9rocsolver6v33100L19stedcj_solve_kernelIdEEviPT_lS3_lS3_iilPiS3_S4_S2_S2_S2_.kd
    .uniform_work_group_size: 1
    .uses_dynamic_stack: false
    .vgpr_count:     46
    .vgpr_spill_count: 0
    .wavefront_size: 64
  - .args:
      - .offset:         0
        .size:           4
        .value_kind:     by_value
      - .offset:         4
        .size:           4
        .value_kind:     by_value
      - .address_space:  global
        .offset:         8
        .size:           8
        .value_kind:     global_buffer
      - .offset:         16
        .size:           8
        .value_kind:     by_value
      - .address_space:  global
        .offset:         24
        .size:           8
        .value_kind:     global_buffer
      - .offset:         32
        .size:           8
        .value_kind:     by_value
      - .address_space:  global
        .offset:         40
        .size:           8
        .value_kind:     global_buffer
      - .offset:         48
        .size:           4
        .value_kind:     by_value
      - .offset:         52
        .size:           4
        .value_kind:     by_value
      - .offset:         56
        .size:           8
        .value_kind:     by_value
      - .address_space:  global
        .offset:         64
        .size:           8
        .value_kind:     global_buffer
      - .address_space:  global
        .offset:         72
        .size:           8
        .value_kind:     global_buffer
      - .address_space:  global
        .offset:         80
        .size:           8
        .value_kind:     global_buffer
      - .offset:         88
        .size:           8
        .value_kind:     by_value
      - .offset:         96
        .size:           4
        .value_kind:     hidden_block_count_x
      - .offset:         100
        .size:           4
        .value_kind:     hidden_block_count_y
      - .offset:         104
        .size:           4
        .value_kind:     hidden_block_count_z
      - .offset:         108
        .size:           2
        .value_kind:     hidden_group_size_x
      - .offset:         110
        .size:           2
        .value_kind:     hidden_group_size_y
      - .offset:         112
        .size:           2
        .value_kind:     hidden_group_size_z
      - .offset:         114
        .size:           2
        .value_kind:     hidden_remainder_x
      - .offset:         116
        .size:           2
        .value_kind:     hidden_remainder_y
      - .offset:         118
        .size:           2
        .value_kind:     hidden_remainder_z
      - .offset:         136
        .size:           8
        .value_kind:     hidden_global_offset_x
      - .offset:         144
        .size:           8
        .value_kind:     hidden_global_offset_y
      - .offset:         152
        .size:           8
        .value_kind:     hidden_global_offset_z
      - .offset:         160
        .size:           2
        .value_kind:     hidden_grid_dims
      - .offset:         216
        .size:           4
        .value_kind:     hidden_dynamic_lds_size
    .group_segment_fixed_size: 0
    .kernarg_segment_align: 8
    .kernarg_segment_size: 352
    .language:       OpenCL C
    .language_version:
      - 2
      - 0
    .max_flat_workgroup_size: 512
    .name:           _ZN9rocsolver6v33100L26stedcj_mergePrepare_kernelIdEEviiPT_lS3_lS3_iilS3_S3_PiS2_
    .private_segment_fixed_size: 0
    .sgpr_count:     84
    .sgpr_spill_count: 0
    .symbol:         _ZN9rocsolver6v33100L26stedcj_mergePrepare_kernelIdEEviiPT_lS3_lS3_iilS3_S3_PiS2_.kd
    .uniform_work_group_size: 1
    .uses_dynamic_stack: false
    .vgpr_count:     43
    .vgpr_spill_count: 0
    .wavefront_size: 64
  - .args:
      - .offset:         0
        .size:           4
        .value_kind:     by_value
      - .offset:         4
        .size:           4
        .value_kind:     by_value
      - .address_space:  global
        .offset:         8
        .size:           8
        .value_kind:     global_buffer
      - .offset:         16
        .size:           8
        .value_kind:     by_value
      - .address_space:  global
        .offset:         24
        .size:           8
        .value_kind:     global_buffer
      - .offset:         32
        .size:           8
        .value_kind:     by_value
      - .address_space:  global
        .offset:         40
        .size:           8
        .value_kind:     global_buffer
      - .address_space:  global
        .offset:         48
        .size:           8
        .value_kind:     global_buffer
      - .address_space:  global
        .offset:         56
        .size:           8
        .value_kind:     global_buffer
      - .offset:         64
        .size:           8
        .value_kind:     by_value
      - .offset:         72
        .size:           8
        .value_kind:     by_value
      - .offset:         80
        .size:           8
        .value_kind:     by_value
      - .offset:         88
        .size:           4
        .value_kind:     hidden_block_count_x
      - .offset:         92
        .size:           4
        .value_kind:     hidden_block_count_y
      - .offset:         96
        .size:           4
        .value_kind:     hidden_block_count_z
      - .offset:         100
        .size:           2
        .value_kind:     hidden_group_size_x
      - .offset:         102
        .size:           2
        .value_kind:     hidden_group_size_y
      - .offset:         104
        .size:           2
        .value_kind:     hidden_group_size_z
      - .offset:         106
        .size:           2
        .value_kind:     hidden_remainder_x
      - .offset:         108
        .size:           2
        .value_kind:     hidden_remainder_y
      - .offset:         110
        .size:           2
        .value_kind:     hidden_remainder_z
      - .offset:         128
        .size:           8
        .value_kind:     hidden_global_offset_x
      - .offset:         136
        .size:           8
        .value_kind:     hidden_global_offset_y
      - .offset:         144
        .size:           8
        .value_kind:     hidden_global_offset_z
      - .offset:         152
        .size:           2
        .value_kind:     hidden_grid_dims
    .group_segment_fixed_size: 0
    .kernarg_segment_align: 8
    .kernarg_segment_size: 344
    .language:       OpenCL C
    .language_version:
      - 2
      - 0
    .max_flat_workgroup_size: 512
    .name:           _ZN9rocsolver6v33100L25stedcj_mergeValues_kernelIdEEviiPT_lS3_lS3_S3_PiS2_S2_S2_
    .private_segment_fixed_size: 0
    .sgpr_count:     100
    .sgpr_spill_count: 43
    .symbol:         _ZN9rocsolver6v33100L25stedcj_mergeValues_kernelIdEEviiPT_lS3_lS3_S3_PiS2_S2_S2_.kd
    .uniform_work_group_size: 1
    .uses_dynamic_stack: false
    .vgpr_count:     83
    .vgpr_spill_count: 0
    .wavefront_size: 64
  - .args:
      - .offset:         0
        .size:           4
        .value_kind:     by_value
      - .offset:         4
        .size:           4
        .value_kind:     by_value
      - .address_space:  global
        .offset:         8
        .size:           8
        .value_kind:     global_buffer
      - .offset:         16
        .size:           8
        .value_kind:     by_value
      - .address_space:  global
        .offset:         24
        .size:           8
        .value_kind:     global_buffer
      - .offset:         32
        .size:           8
        .value_kind:     by_value
      - .address_space:  global
        .offset:         40
        .size:           8
        .value_kind:     global_buffer
      - .offset:         48
        .size:           4
        .value_kind:     by_value
      - .offset:         52
        .size:           4
        .value_kind:     by_value
      - .offset:         56
        .size:           8
        .value_kind:     by_value
      - .address_space:  global
        .offset:         64
        .size:           8
        .value_kind:     global_buffer
      - .address_space:  global
        .offset:         72
        .size:           8
        .value_kind:     global_buffer
      - .address_space:  global
        .offset:         80
        .size:           8
        .value_kind:     global_buffer
      - .offset:         88
        .size:           4
        .value_kind:     hidden_block_count_x
      - .offset:         92
        .size:           4
        .value_kind:     hidden_block_count_y
      - .offset:         96
        .size:           4
        .value_kind:     hidden_block_count_z
      - .offset:         100
        .size:           2
        .value_kind:     hidden_group_size_x
      - .offset:         102
        .size:           2
        .value_kind:     hidden_group_size_y
      - .offset:         104
        .size:           2
        .value_kind:     hidden_group_size_z
      - .offset:         106
        .size:           2
        .value_kind:     hidden_remainder_x
      - .offset:         108
        .size:           2
        .value_kind:     hidden_remainder_y
      - .offset:         110
        .size:           2
        .value_kind:     hidden_remainder_z
      - .offset:         128
        .size:           8
        .value_kind:     hidden_global_offset_x
      - .offset:         136
        .size:           8
        .value_kind:     hidden_global_offset_y
      - .offset:         144
        .size:           8
        .value_kind:     hidden_global_offset_z
      - .offset:         152
        .size:           2
        .value_kind:     hidden_grid_dims
      - .offset:         208
        .size:           4
        .value_kind:     hidden_dynamic_lds_size
    .group_segment_fixed_size: 0
    .kernarg_segment_align: 8
    .kernarg_segment_size: 344
    .language:       OpenCL C
    .language_version:
      - 2
      - 0
    .max_flat_workgroup_size: 512
    .name:           _ZN9rocsolver6v33100L26stedcj_mergeVectors_kernelILb0EdEEviiPT0_lS3_lS3_iilS3_S3_Pi
    .private_segment_fixed_size: 0
    .sgpr_count:     65
    .sgpr_spill_count: 0
    .symbol:         _ZN9rocsolver6v33100L26stedcj_mergeVectors_kernelILb0EdEEviiPT0_lS3_lS3_iilS3_S3_Pi.kd
    .uniform_work_group_size: 1
    .uses_dynamic_stack: false
    .vgpr_count:     31
    .vgpr_spill_count: 0
    .wavefront_size: 64
  - .args:
      - .offset:         0
        .size:           4
        .value_kind:     by_value
      - .offset:         4
        .size:           4
        .value_kind:     by_value
      - .address_space:  global
        .offset:         8
        .size:           8
        .value_kind:     global_buffer
      - .offset:         16
        .size:           8
        .value_kind:     by_value
      - .address_space:  global
        .offset:         24
        .size:           8
        .value_kind:     global_buffer
      - .offset:         32
        .size:           4
        .value_kind:     by_value
      - .offset:         36
        .size:           4
        .value_kind:     by_value
      - .offset:         40
        .size:           8
        .value_kind:     by_value
      - .address_space:  global
        .offset:         48
        .size:           8
        .value_kind:     global_buffer
      - .address_space:  global
        .offset:         56
        .size:           8
        .value_kind:     global_buffer
      - .address_space:  global
        .offset:         64
        .size:           8
        .value_kind:     global_buffer
      - .offset:         72
        .size:           4
        .value_kind:     hidden_block_count_x
      - .offset:         76
        .size:           4
        .value_kind:     hidden_block_count_y
      - .offset:         80
        .size:           4
        .value_kind:     hidden_block_count_z
      - .offset:         84
        .size:           2
        .value_kind:     hidden_group_size_x
      - .offset:         86
        .size:           2
        .value_kind:     hidden_group_size_y
      - .offset:         88
        .size:           2
        .value_kind:     hidden_group_size_z
      - .offset:         90
        .size:           2
        .value_kind:     hidden_remainder_x
      - .offset:         92
        .size:           2
        .value_kind:     hidden_remainder_y
      - .offset:         94
        .size:           2
        .value_kind:     hidden_remainder_z
      - .offset:         112
        .size:           8
        .value_kind:     hidden_global_offset_x
      - .offset:         120
        .size:           8
        .value_kind:     hidden_global_offset_y
      - .offset:         128
        .size:           8
        .value_kind:     hidden_global_offset_z
      - .offset:         136
        .size:           2
        .value_kind:     hidden_grid_dims
    .group_segment_fixed_size: 0
    .kernarg_segment_align: 8
    .kernarg_segment_size: 328
    .language:       OpenCL C
    .language_version:
      - 2
      - 0
    .max_flat_workgroup_size: 512
    .name:           _ZN9rocsolver6v33100L25stedcj_mergeUpdate_kernelIdEEviiPT_lS3_iilS3_S3_Pi
    .private_segment_fixed_size: 0
    .sgpr_count:     51
    .sgpr_spill_count: 0
    .symbol:         _ZN9rocsolver6v33100L25stedcj_mergeUpdate_kernelIdEEviiPT_lS3_iilS3_S3_Pi.kd
    .uniform_work_group_size: 1
    .uses_dynamic_stack: false
    .vgpr_count:     13
    .vgpr_spill_count: 0
    .wavefront_size: 64
  - .args:
      - .offset:         0
        .size:           4
        .value_kind:     by_value
      - .offset:         4
        .size:           4
        .value_kind:     by_value
      - .offset:         8
        .size:           4
        .value_kind:     by_value
      - .address_space:  global
        .offset:         16
        .size:           8
        .value_kind:     global_buffer
      - .offset:         24
        .size:           4
        .value_kind:     by_value
      - .offset:         28
        .size:           4
        .value_kind:     by_value
      - .offset:         32
        .size:           8
        .value_kind:     by_value
      - .address_space:  global
        .offset:         40
        .size:           8
        .value_kind:     global_buffer
      - .offset:         48
        .size:           1
        .value_kind:     by_value
      - .offset:         52
        .size:           4
        .value_kind:     by_value
      - .offset:         56
        .size:           4
        .value_kind:     by_value
      - .offset:         64
        .size:           4
        .value_kind:     hidden_block_count_x
      - .offset:         68
        .size:           4
        .value_kind:     hidden_block_count_y
      - .offset:         72
        .size:           4
        .value_kind:     hidden_block_count_z
      - .offset:         76
        .size:           2
        .value_kind:     hidden_group_size_x
      - .offset:         78
        .size:           2
        .value_kind:     hidden_group_size_y
      - .offset:         80
        .size:           2
        .value_kind:     hidden_group_size_z
      - .offset:         82
        .size:           2
        .value_kind:     hidden_remainder_x
      - .offset:         84
        .size:           2
        .value_kind:     hidden_remainder_y
      - .offset:         86
        .size:           2
        .value_kind:     hidden_remainder_z
      - .offset:         104
        .size:           8
        .value_kind:     hidden_global_offset_x
      - .offset:         112
        .size:           8
        .value_kind:     hidden_global_offset_y
      - .offset:         120
        .size:           8
        .value_kind:     hidden_global_offset_z
      - .offset:         128
        .size:           2
        .value_kind:     hidden_grid_dims
    .group_segment_fixed_size: 0
    .kernarg_segment_align: 8
    .kernarg_segment_size: 320
    .language:       OpenCL C
    .language_version:
      - 2
      - 0
    .max_flat_workgroup_size: 1024
    .name:           _ZN9rocsolver6v33100L8copy_matIdPdNS0_7no_maskEEEvNS0_17copymat_directionEiiT0_iilPT_T1_13rocblas_fill_17rocblas_diagonal_
    .private_segment_fixed_size: 0
    .sgpr_count:     28
    .sgpr_spill_count: 0
    .symbol:         _ZN9rocsolver6v33100L8copy_matIdPdNS0_7no_maskEEEvNS0_17copymat_directionEiiT0_iilPT_T1_13rocblas_fill_17rocblas_diagonal_.kd
    .uniform_work_group_size: 1
    .uses_dynamic_stack: false
    .vgpr_count:     6
    .vgpr_spill_count: 0
    .wavefront_size: 64
  - .args:
      - .offset:         0
        .size:           4
        .value_kind:     by_value
      - .address_space:  global
        .offset:         8
        .size:           8
        .value_kind:     global_buffer
      - .offset:         16
        .size:           8
        .value_kind:     by_value
      - .address_space:  global
        .offset:         24
        .size:           8
        .value_kind:     global_buffer
      - .offset:         32
        .size:           4
        .value_kind:     by_value
      - .offset:         36
        .size:           4
        .value_kind:     by_value
      - .offset:         40
        .size:           8
        .value_kind:     by_value
      - .offset:         48
        .size:           4
        .value_kind:     by_value
      - .address_space:  global
        .offset:         56
        .size:           8
        .value_kind:     global_buffer
      - .address_space:  global
        .offset:         64
        .size:           8
        .value_kind:     global_buffer
      - .offset:         72
        .size:           4
        .value_kind:     hidden_block_count_x
      - .offset:         76
        .size:           4
        .value_kind:     hidden_block_count_y
      - .offset:         80
        .size:           4
        .value_kind:     hidden_block_count_z
      - .offset:         84
        .size:           2
        .value_kind:     hidden_group_size_x
      - .offset:         86
        .size:           2
        .value_kind:     hidden_group_size_y
      - .offset:         88
        .size:           2
        .value_kind:     hidden_group_size_z
      - .offset:         90
        .size:           2
        .value_kind:     hidden_remainder_x
      - .offset:         92
        .size:           2
        .value_kind:     hidden_remainder_y
      - .offset:         94
        .size:           2
        .value_kind:     hidden_remainder_z
      - .offset:         112
        .size:           8
        .value_kind:     hidden_global_offset_x
      - .offset:         120
        .size:           8
        .value_kind:     hidden_global_offset_y
      - .offset:         128
        .size:           8
        .value_kind:     hidden_global_offset_z
      - .offset:         136
        .size:           2
        .value_kind:     hidden_grid_dims
      - .offset:         152
        .size:           8
        .value_kind:     hidden_hostcall_buffer
    .group_segment_fixed_size: 0
    .kernarg_segment_align: 8
    .kernarg_segment_size: 328
    .language:       OpenCL C
    .language_version:
      - 2
      - 0
    .max_flat_workgroup_size: 256
    .name:           _ZN9rocsolver6v33100L11stedcj_sortIddPdEEviPT0_lT1_iiliPiS6_
    .private_segment_fixed_size: 64
    .sgpr_count:     78
    .sgpr_spill_count: 0
    .symbol:         _ZN9rocsolver6v33100L11stedcj_sortIddPdEEviPT0_lT1_iiliPiS6_.kd
    .uniform_work_group_size: 1
    .uses_dynamic_stack: false
    .vgpr_count:     51
    .vgpr_spill_count: 0
    .wavefront_size: 64
  - .args:
      - .address_space:  global
        .offset:         0
        .size:           8
        .value_kind:     global_buffer
      - .offset:         8
        .size:           8
        .value_kind:     by_value
      - .offset:         16
        .size:           4
        .value_kind:     by_value
      - .offset:         20
        .size:           4
        .value_kind:     by_value
      - .offset:         24
        .size:           4
        .value_kind:     hidden_block_count_x
      - .offset:         28
        .size:           4
        .value_kind:     hidden_block_count_y
      - .offset:         32
        .size:           4
        .value_kind:     hidden_block_count_z
      - .offset:         36
        .size:           2
        .value_kind:     hidden_group_size_x
      - .offset:         38
        .size:           2
        .value_kind:     hidden_group_size_y
      - .offset:         40
        .size:           2
        .value_kind:     hidden_group_size_z
      - .offset:         42
        .size:           2
        .value_kind:     hidden_remainder_x
      - .offset:         44
        .size:           2
        .value_kind:     hidden_remainder_y
      - .offset:         46
        .size:           2
        .value_kind:     hidden_remainder_z
      - .offset:         64
        .size:           8
        .value_kind:     hidden_global_offset_x
      - .offset:         72
        .size:           8
        .value_kind:     hidden_global_offset_y
      - .offset:         80
        .size:           8
        .value_kind:     hidden_global_offset_z
      - .offset:         88
        .size:           2
        .value_kind:     hidden_grid_dims
    .group_segment_fixed_size: 0
    .kernarg_segment_align: 8
    .kernarg_segment_size: 280
    .language:       OpenCL C
    .language_version:
      - 2
      - 0
    .max_flat_workgroup_size: 1024
    .name:           _ZN9rocsolver6v33100L16reset_batch_infoI19rocblas_complex_numIfEiiPS3_EEvT2_lT0_T1_
    .private_segment_fixed_size: 0
    .sgpr_count:     16
    .sgpr_spill_count: 0
    .symbol:         _ZN9rocsolver6v33100L16reset_batch_infoI19rocblas_complex_numIfEiiPS3_EEvT2_lT0_T1_.kd
    .uniform_work_group_size: 1
    .uses_dynamic_stack: false
    .vgpr_count:     4
    .vgpr_spill_count: 0
    .wavefront_size: 64
  - .args:
      - .offset:         0
        .size:           4
        .value_kind:     by_value
      - .offset:         4
        .size:           4
        .value_kind:     by_value
      - .address_space:  global
        .offset:         8
        .size:           8
        .value_kind:     global_buffer
      - .offset:         16
        .size:           4
        .value_kind:     by_value
      - .offset:         20
        .size:           4
        .value_kind:     by_value
      - .offset:         24
        .size:           8
        .value_kind:     by_value
      - .offset:         32
        .size:           4
        .value_kind:     hidden_block_count_x
      - .offset:         36
        .size:           4
        .value_kind:     hidden_block_count_y
      - .offset:         40
        .size:           4
        .value_kind:     hidden_block_count_z
      - .offset:         44
        .size:           2
        .value_kind:     hidden_group_size_x
      - .offset:         46
        .size:           2
        .value_kind:     hidden_group_size_y
      - .offset:         48
        .size:           2
        .value_kind:     hidden_group_size_z
      - .offset:         50
        .size:           2
        .value_kind:     hidden_remainder_x
      - .offset:         52
        .size:           2
        .value_kind:     hidden_remainder_y
      - .offset:         54
        .size:           2
        .value_kind:     hidden_remainder_z
      - .offset:         72
        .size:           8
        .value_kind:     hidden_global_offset_x
      - .offset:         80
        .size:           8
        .value_kind:     hidden_global_offset_y
      - .offset:         88
        .size:           8
        .value_kind:     hidden_global_offset_z
      - .offset:         96
        .size:           2
        .value_kind:     hidden_grid_dims
    .group_segment_fixed_size: 0
    .kernarg_segment_align: 8
    .kernarg_segment_size: 288
    .language:       OpenCL C
    .language_version:
      - 2
      - 0
    .max_flat_workgroup_size: 1024
    .name:           _ZN9rocsolver6v33100L10init_identI19rocblas_complex_numIfEPS3_EEviiT0_iil
    .private_segment_fixed_size: 0
    .sgpr_count:     13
    .sgpr_spill_count: 0
    .symbol:         _ZN9rocsolver6v33100L10init_identI19rocblas_complex_numIfEPS3_EEviiT0_iil.kd
    .uniform_work_group_size: 1
    .uses_dynamic_stack: false
    .vgpr_count:     7
    .vgpr_spill_count: 0
    .wavefront_size: 64
  - .args:
      - .offset:         0
        .size:           4
        .value_kind:     by_value
      - .offset:         4
        .size:           4
        .value_kind:     by_value
      - .offset:         8
        .size:           4
        .value_kind:     by_value
      - .address_space:  global
        .offset:         16
        .size:           8
        .value_kind:     global_buffer
      - .offset:         24
        .size:           4
        .value_kind:     by_value
      - .offset:         28
        .size:           4
        .value_kind:     by_value
      - .offset:         32
        .size:           8
        .value_kind:     by_value
      - .address_space:  global
        .offset:         40
        .size:           8
        .value_kind:     global_buffer
      - .offset:         48
        .size:           4
        .value_kind:     by_value
      - .offset:         52
        .size:           4
        .value_kind:     by_value
      - .offset:         56
        .size:           4
        .value_kind:     hidden_block_count_x
      - .offset:         60
        .size:           4
        .value_kind:     hidden_block_count_y
      - .offset:         64
        .size:           4
        .value_kind:     hidden_block_count_z
      - .offset:         68
        .size:           2
        .value_kind:     hidden_group_size_x
      - .offset:         70
        .size:           2
        .value_kind:     hidden_group_size_y
      - .offset:         72
        .size:           2
        .value_kind:     hidden_group_size_z
      - .offset:         74
        .size:           2
        .value_kind:     hidden_remainder_x
      - .offset:         76
        .size:           2
        .value_kind:     hidden_remainder_y
      - .offset:         78
        .size:           2
        .value_kind:     hidden_remainder_z
      - .offset:         96
        .size:           8
        .value_kind:     hidden_global_offset_x
      - .offset:         104
        .size:           8
        .value_kind:     hidden_global_offset_y
      - .offset:         112
        .size:           8
        .value_kind:     hidden_global_offset_z
      - .offset:         120
        .size:           2
        .value_kind:     hidden_grid_dims
    .group_segment_fixed_size: 0
    .kernarg_segment_align: 8
    .kernarg_segment_size: 312
    .language:       OpenCL C
    .language_version:
      - 2
      - 0
    .max_flat_workgroup_size: 1024
    .name:           _ZN9rocsolver6v33100L8copy_matI19rocblas_complex_numIfEfLb1EPS3_TnNSt9enable_ifIX18rocblas_is_complexIT_EEiE4typeELi0EEEvNS0_17copymat_directionEiiT2_iilPT0_13rocblas_fill_17rocblas_diagonal_
    .private_segment_fixed_size: 0
    .sgpr_count:     28
    .sgpr_spill_count: 0
    .symbol:         _ZN9rocsolver6v33100L8copy_matI19rocblas_complex_numIfEfLb1EPS3_TnNSt9enable_ifIX18rocblas_is_complexIT_EEiE4typeELi0EEEvNS0_17copymat_directionEiiT2_iilPT0_13rocblas_fill_17rocblas_diagonal_.kd
    .uniform_work_group_size: 1
    .uses_dynamic_stack: false
    .vgpr_count:     8
    .vgpr_spill_count: 0
    .wavefront_size: 64
  - .args:
      - .offset:         0
        .size:           4
        .value_kind:     by_value
      - .offset:         4
        .size:           4
        .value_kind:     by_value
      - .offset:         8
        .size:           4
        .value_kind:     by_value
      - .address_space:  global
        .offset:         16
        .size:           8
        .value_kind:     global_buffer
      - .offset:         24
        .size:           4
        .value_kind:     by_value
      - .offset:         28
        .size:           4
        .value_kind:     by_value
      - .offset:         32
        .size:           8
        .value_kind:     by_value
      - .address_space:  global
        .offset:         40
        .size:           8
        .value_kind:     global_buffer
      - .offset:         48
        .size:           4
        .value_kind:     by_value
      - .offset:         52
        .size:           4
        .value_kind:     by_value
      - .offset:         56
        .size:           4
        .value_kind:     hidden_block_count_x
      - .offset:         60
        .size:           4
        .value_kind:     hidden_block_count_y
      - .offset:         64
        .size:           4
        .value_kind:     hidden_block_count_z
      - .offset:         68
        .size:           2
        .value_kind:     hidden_group_size_x
      - .offset:         70
        .size:           2
        .value_kind:     hidden_group_size_y
      - .offset:         72
        .size:           2
        .value_kind:     hidden_group_size_z
      - .offset:         74
        .size:           2
        .value_kind:     hidden_remainder_x
      - .offset:         76
        .size:           2
        .value_kind:     hidden_remainder_y
      - .offset:         78
        .size:           2
        .value_kind:     hidden_remainder_z
      - .offset:         96
        .size:           8
        .value_kind:     hidden_global_offset_x
      - .offset:         104
        .size:           8
        .value_kind:     hidden_global_offset_y
      - .offset:         112
        .size:           8
        .value_kind:     hidden_global_offset_z
      - .offset:         120
        .size:           2
        .value_kind:     hidden_grid_dims
    .group_segment_fixed_size: 0
    .kernarg_segment_align: 8
    .kernarg_segment_size: 312
    .language:       OpenCL C
    .language_version:
      - 2
      - 0
    .max_flat_workgroup_size: 1024
    .name:           _ZN9rocsolver6v33100L8copy_matI19rocblas_complex_numIfEfLb0EPS3_TnNSt9enable_ifIX18rocblas_is_complexIT_EEiE4typeELi0EEEvNS0_17copymat_directionEiiT2_iilPT0_13rocblas_fill_17rocblas_diagonal_
    .private_segment_fixed_size: 0
    .sgpr_count:     28
    .sgpr_spill_count: 0
    .symbol:         _ZN9rocsolver6v33100L8copy_matI19rocblas_complex_numIfEfLb0EPS3_TnNSt9enable_ifIX18rocblas_is_complexIT_EEiE4typeELi0EEEvNS0_17copymat_directionEiiT2_iilPT0_13rocblas_fill_17rocblas_diagonal_.kd
    .uniform_work_group_size: 1
    .uses_dynamic_stack: false
    .vgpr_count:     8
    .vgpr_spill_count: 0
    .wavefront_size: 64
  - .args:
      - .offset:         0
        .size:           4
        .value_kind:     by_value
      - .address_space:  global
        .offset:         8
        .size:           8
        .value_kind:     global_buffer
      - .offset:         16
        .size:           8
        .value_kind:     by_value
      - .address_space:  global
        .offset:         24
        .size:           8
        .value_kind:     global_buffer
      - .offset:         32
        .size:           4
        .value_kind:     by_value
      - .offset:         36
        .size:           4
        .value_kind:     by_value
      - .offset:         40
        .size:           8
        .value_kind:     by_value
      - .offset:         48
        .size:           4
        .value_kind:     by_value
      - .address_space:  global
        .offset:         56
        .size:           8
        .value_kind:     global_buffer
      - .address_space:  global
        .offset:         64
        .size:           8
        .value_kind:     global_buffer
      - .offset:         72
        .size:           4
        .value_kind:     hidden_block_count_x
      - .offset:         76
        .size:           4
        .value_kind:     hidden_block_count_y
      - .offset:         80
        .size:           4
        .value_kind:     hidden_block_count_z
      - .offset:         84
        .size:           2
        .value_kind:     hidden_group_size_x
      - .offset:         86
        .size:           2
        .value_kind:     hidden_group_size_y
      - .offset:         88
        .size:           2
        .value_kind:     hidden_group_size_z
      - .offset:         90
        .size:           2
        .value_kind:     hidden_remainder_x
      - .offset:         92
        .size:           2
        .value_kind:     hidden_remainder_y
      - .offset:         94
        .size:           2
        .value_kind:     hidden_remainder_z
      - .offset:         112
        .size:           8
        .value_kind:     hidden_global_offset_x
      - .offset:         120
        .size:           8
        .value_kind:     hidden_global_offset_y
      - .offset:         128
        .size:           8
        .value_kind:     hidden_global_offset_z
      - .offset:         136
        .size:           2
        .value_kind:     hidden_grid_dims
      - .offset:         152
        .size:           8
        .value_kind:     hidden_hostcall_buffer
    .group_segment_fixed_size: 0
    .kernarg_segment_align: 8
    .kernarg_segment_size: 328
    .language:       OpenCL C
    .language_version:
      - 2
      - 0
    .max_flat_workgroup_size: 256
    .name:           _ZN9rocsolver6v33100L11stedcj_sortI19rocblas_complex_numIfEfPS3_EEviPT0_lT1_iiliPiS8_
    .private_segment_fixed_size: 64
    .sgpr_count:     79
    .sgpr_spill_count: 0
    .symbol:         _ZN9rocsolver6v33100L11stedcj_sortI19rocblas_complex_numIfEfPS3_EEviPT0_lT1_iiliPiS8_.kd
    .uniform_work_group_size: 1
    .uses_dynamic_stack: false
    .vgpr_count:     51
    .vgpr_spill_count: 0
    .wavefront_size: 64
  - .args:
      - .address_space:  global
        .offset:         0
        .size:           8
        .value_kind:     global_buffer
      - .offset:         8
        .size:           8
        .value_kind:     by_value
      - .offset:         16
        .size:           4
        .value_kind:     by_value
      - .offset:         20
        .size:           4
        .value_kind:     by_value
      - .offset:         24
        .size:           4
        .value_kind:     hidden_block_count_x
      - .offset:         28
        .size:           4
        .value_kind:     hidden_block_count_y
      - .offset:         32
        .size:           4
        .value_kind:     hidden_block_count_z
      - .offset:         36
        .size:           2
        .value_kind:     hidden_group_size_x
      - .offset:         38
        .size:           2
        .value_kind:     hidden_group_size_y
      - .offset:         40
        .size:           2
        .value_kind:     hidden_group_size_z
      - .offset:         42
        .size:           2
        .value_kind:     hidden_remainder_x
      - .offset:         44
        .size:           2
        .value_kind:     hidden_remainder_y
      - .offset:         46
        .size:           2
        .value_kind:     hidden_remainder_z
      - .offset:         64
        .size:           8
        .value_kind:     hidden_global_offset_x
      - .offset:         72
        .size:           8
        .value_kind:     hidden_global_offset_y
      - .offset:         80
        .size:           8
        .value_kind:     hidden_global_offset_z
      - .offset:         88
        .size:           2
        .value_kind:     hidden_grid_dims
    .group_segment_fixed_size: 0
    .kernarg_segment_align: 8
    .kernarg_segment_size: 280
    .language:       OpenCL C
    .language_version:
      - 2
      - 0
    .max_flat_workgroup_size: 1024
    .name:           _ZN9rocsolver6v33100L16reset_batch_infoI19rocblas_complex_numIdEiiPS3_EEvT2_lT0_T1_
    .private_segment_fixed_size: 0
    .sgpr_count:     16
    .sgpr_spill_count: 0
    .symbol:         _ZN9rocsolver6v33100L16reset_batch_infoI19rocblas_complex_numIdEiiPS3_EEvT2_lT0_T1_.kd
    .uniform_work_group_size: 1
    .uses_dynamic_stack: false
    .vgpr_count:     6
    .vgpr_spill_count: 0
    .wavefront_size: 64
  - .args:
      - .offset:         0
        .size:           4
        .value_kind:     by_value
      - .offset:         4
        .size:           4
        .value_kind:     by_value
      - .address_space:  global
        .offset:         8
        .size:           8
        .value_kind:     global_buffer
      - .offset:         16
        .size:           4
        .value_kind:     by_value
      - .offset:         20
        .size:           4
        .value_kind:     by_value
      - .offset:         24
        .size:           8
        .value_kind:     by_value
      - .offset:         32
        .size:           4
        .value_kind:     hidden_block_count_x
      - .offset:         36
        .size:           4
        .value_kind:     hidden_block_count_y
      - .offset:         40
        .size:           4
        .value_kind:     hidden_block_count_z
      - .offset:         44
        .size:           2
        .value_kind:     hidden_group_size_x
      - .offset:         46
        .size:           2
        .value_kind:     hidden_group_size_y
      - .offset:         48
        .size:           2
        .value_kind:     hidden_group_size_z
      - .offset:         50
        .size:           2
        .value_kind:     hidden_remainder_x
      - .offset:         52
        .size:           2
        .value_kind:     hidden_remainder_y
      - .offset:         54
        .size:           2
        .value_kind:     hidden_remainder_z
      - .offset:         72
        .size:           8
        .value_kind:     hidden_global_offset_x
      - .offset:         80
        .size:           8
        .value_kind:     hidden_global_offset_y
      - .offset:         88
        .size:           8
        .value_kind:     hidden_global_offset_z
      - .offset:         96
        .size:           2
        .value_kind:     hidden_grid_dims
    .group_segment_fixed_size: 0
    .kernarg_segment_align: 8
    .kernarg_segment_size: 288
    .language:       OpenCL C
    .language_version:
      - 2
      - 0
    .max_flat_workgroup_size: 1024
    .name:           _ZN9rocsolver6v33100L10init_identI19rocblas_complex_numIdEPS3_EEviiT0_iil
    .private_segment_fixed_size: 0
    .sgpr_count:     13
    .sgpr_spill_count: 0
    .symbol:         _ZN9rocsolver6v33100L10init_identI19rocblas_complex_numIdEPS3_EEviiT0_iil.kd
    .uniform_work_group_size: 1
    .uses_dynamic_stack: false
    .vgpr_count:     6
    .vgpr_spill_count: 0
    .wavefront_size: 64
  - .args:
      - .offset:         0
        .size:           4
        .value_kind:     by_value
      - .offset:         4
        .size:           4
        .value_kind:     by_value
      - .offset:         8
        .size:           4
        .value_kind:     by_value
      - .address_space:  global
        .offset:         16
        .size:           8
        .value_kind:     global_buffer
      - .offset:         24
        .size:           4
        .value_kind:     by_value
      - .offset:         28
        .size:           4
        .value_kind:     by_value
      - .offset:         32
        .size:           8
        .value_kind:     by_value
      - .address_space:  global
        .offset:         40
        .size:           8
        .value_kind:     global_buffer
      - .offset:         48
        .size:           4
        .value_kind:     by_value
      - .offset:         52
        .size:           4
        .value_kind:     by_value
      - .offset:         56
        .size:           4
        .value_kind:     hidden_block_count_x
      - .offset:         60
        .size:           4
        .value_kind:     hidden_block_count_y
      - .offset:         64
        .size:           4
        .value_kind:     hidden_block_count_z
      - .offset:         68
        .size:           2
        .value_kind:     hidden_group_size_x
      - .offset:         70
        .size:           2
        .value_kind:     hidden_group_size_y
      - .offset:         72
        .size:           2
        .value_kind:     hidden_group_size_z
      - .offset:         74
        .size:           2
        .value_kind:     hidden_remainder_x
      - .offset:         76
        .size:           2
        .value_kind:     hidden_remainder_y
      - .offset:         78
        .size:           2
        .value_kind:     hidden_remainder_z
      - .offset:         96
        .size:           8
        .value_kind:     hidden_global_offset_x
      - .offset:         104
        .size:           8
        .value_kind:     hidden_global_offset_y
      - .offset:         112
        .size:           8
        .value_kind:     hidden_global_offset_z
      - .offset:         120
        .size:           2
        .value_kind:     hidden_grid_dims
    .group_segment_fixed_size: 0
    .kernarg_segment_align: 8
    .kernarg_segment_size: 312
    .language:       OpenCL C
    .language_version:
      - 2
      - 0
    .max_flat_workgroup_size: 1024
    .name:           _ZN9rocsolver6v33100L8copy_matI19rocblas_complex_numIdEdLb1EPS3_TnNSt9enable_ifIX18rocblas_is_complexIT_EEiE4typeELi0EEEvNS0_17copymat_directionEiiT2_iilPT0_13rocblas_fill_17rocblas_diagonal_
    .private_segment_fixed_size: 0
    .sgpr_count:     28
    .sgpr_spill_count: 0
    .symbol:         _ZN9rocsolver6v33100L8copy_matI19rocblas_complex_numIdEdLb1EPS3_TnNSt9enable_ifIX18rocblas_is_complexIT_EEiE4typeELi0EEEvNS0_17copymat_directionEiiT2_iilPT0_13rocblas_fill_17rocblas_diagonal_.kd
    .uniform_work_group_size: 1
    .uses_dynamic_stack: false
    .vgpr_count:     9
    .vgpr_spill_count: 0
    .wavefront_size: 64
  - .args:
      - .offset:         0
        .size:           4
        .value_kind:     by_value
      - .offset:         4
        .size:           4
        .value_kind:     by_value
      - .offset:         8
        .size:           4
        .value_kind:     by_value
      - .address_space:  global
        .offset:         16
        .size:           8
        .value_kind:     global_buffer
      - .offset:         24
        .size:           4
        .value_kind:     by_value
      - .offset:         28
        .size:           4
        .value_kind:     by_value
      - .offset:         32
        .size:           8
        .value_kind:     by_value
      - .address_space:  global
        .offset:         40
        .size:           8
        .value_kind:     global_buffer
      - .offset:         48
        .size:           4
        .value_kind:     by_value
      - .offset:         52
        .size:           4
        .value_kind:     by_value
      - .offset:         56
        .size:           4
        .value_kind:     hidden_block_count_x
      - .offset:         60
        .size:           4
        .value_kind:     hidden_block_count_y
      - .offset:         64
        .size:           4
        .value_kind:     hidden_block_count_z
      - .offset:         68
        .size:           2
        .value_kind:     hidden_group_size_x
      - .offset:         70
        .size:           2
        .value_kind:     hidden_group_size_y
      - .offset:         72
        .size:           2
        .value_kind:     hidden_group_size_z
      - .offset:         74
        .size:           2
        .value_kind:     hidden_remainder_x
      - .offset:         76
        .size:           2
        .value_kind:     hidden_remainder_y
      - .offset:         78
        .size:           2
        .value_kind:     hidden_remainder_z
      - .offset:         96
        .size:           8
        .value_kind:     hidden_global_offset_x
      - .offset:         104
        .size:           8
        .value_kind:     hidden_global_offset_y
      - .offset:         112
        .size:           8
        .value_kind:     hidden_global_offset_z
      - .offset:         120
        .size:           2
        .value_kind:     hidden_grid_dims
    .group_segment_fixed_size: 0
    .kernarg_segment_align: 8
    .kernarg_segment_size: 312
    .language:       OpenCL C
    .language_version:
      - 2
      - 0
    .max_flat_workgroup_size: 1024
    .name:           _ZN9rocsolver6v33100L8copy_matI19rocblas_complex_numIdEdLb0EPS3_TnNSt9enable_ifIX18rocblas_is_complexIT_EEiE4typeELi0EEEvNS0_17copymat_directionEiiT2_iilPT0_13rocblas_fill_17rocblas_diagonal_
    .private_segment_fixed_size: 0
    .sgpr_count:     28
    .sgpr_spill_count: 0
    .symbol:         _ZN9rocsolver6v33100L8copy_matI19rocblas_complex_numIdEdLb0EPS3_TnNSt9enable_ifIX18rocblas_is_complexIT_EEiE4typeELi0EEEvNS0_17copymat_directionEiiT2_iilPT0_13rocblas_fill_17rocblas_diagonal_.kd
    .uniform_work_group_size: 1
    .uses_dynamic_stack: false
    .vgpr_count:     8
    .vgpr_spill_count: 0
    .wavefront_size: 64
  - .args:
      - .offset:         0
        .size:           4
        .value_kind:     by_value
      - .address_space:  global
        .offset:         8
        .size:           8
        .value_kind:     global_buffer
      - .offset:         16
        .size:           8
        .value_kind:     by_value
      - .address_space:  global
        .offset:         24
        .size:           8
        .value_kind:     global_buffer
      - .offset:         32
        .size:           4
        .value_kind:     by_value
      - .offset:         36
        .size:           4
        .value_kind:     by_value
      - .offset:         40
        .size:           8
        .value_kind:     by_value
      - .offset:         48
        .size:           4
        .value_kind:     by_value
      - .address_space:  global
        .offset:         56
        .size:           8
        .value_kind:     global_buffer
      - .address_space:  global
        .offset:         64
        .size:           8
        .value_kind:     global_buffer
      - .offset:         72
        .size:           4
        .value_kind:     hidden_block_count_x
      - .offset:         76
        .size:           4
        .value_kind:     hidden_block_count_y
      - .offset:         80
        .size:           4
        .value_kind:     hidden_block_count_z
      - .offset:         84
        .size:           2
        .value_kind:     hidden_group_size_x
      - .offset:         86
        .size:           2
        .value_kind:     hidden_group_size_y
      - .offset:         88
        .size:           2
        .value_kind:     hidden_group_size_z
      - .offset:         90
        .size:           2
        .value_kind:     hidden_remainder_x
      - .offset:         92
        .size:           2
        .value_kind:     hidden_remainder_y
      - .offset:         94
        .size:           2
        .value_kind:     hidden_remainder_z
      - .offset:         112
        .size:           8
        .value_kind:     hidden_global_offset_x
      - .offset:         120
        .size:           8
        .value_kind:     hidden_global_offset_y
      - .offset:         128
        .size:           8
        .value_kind:     hidden_global_offset_z
      - .offset:         136
        .size:           2
        .value_kind:     hidden_grid_dims
      - .offset:         152
        .size:           8
        .value_kind:     hidden_hostcall_buffer
    .group_segment_fixed_size: 4096
    .kernarg_segment_align: 8
    .kernarg_segment_size: 328
    .language:       OpenCL C
    .language_version:
      - 2
      - 0
    .max_flat_workgroup_size: 256
    .name:           _ZN9rocsolver6v33100L11stedcj_sortI19rocblas_complex_numIdEdPS3_EEviPT0_lT1_iiliPiS8_
    .private_segment_fixed_size: 64
    .sgpr_count:     79
    .sgpr_spill_count: 0
    .symbol:         _ZN9rocsolver6v33100L11stedcj_sortI19rocblas_complex_numIdEdPS3_EEviPT0_lT1_iiliPiS8_.kd
    .uniform_work_group_size: 1
    .uses_dynamic_stack: false
    .vgpr_count:     51
    .vgpr_spill_count: 0
    .wavefront_size: 64
amdhsa.target:   amdgcn-amd-amdhsa--gfx906
amdhsa.version:
  - 1
  - 2
...

	.end_amdgpu_metadata
